;; amdgpu-corpus repo=ROCm/rocFFT kind=compiled arch=gfx906 opt=O3
	.text
	.amdgcn_target "amdgcn-amd-amdhsa--gfx906"
	.amdhsa_code_object_version 6
	.protected	fft_rtc_fwd_len2880_factors_10_6_6_2_2_2_wgs_96_tpt_96_halfLds_sp_ip_CI_unitstride_sbrr_dirReg ; -- Begin function fft_rtc_fwd_len2880_factors_10_6_6_2_2_2_wgs_96_tpt_96_halfLds_sp_ip_CI_unitstride_sbrr_dirReg
	.globl	fft_rtc_fwd_len2880_factors_10_6_6_2_2_2_wgs_96_tpt_96_halfLds_sp_ip_CI_unitstride_sbrr_dirReg
	.p2align	8
	.type	fft_rtc_fwd_len2880_factors_10_6_6_2_2_2_wgs_96_tpt_96_halfLds_sp_ip_CI_unitstride_sbrr_dirReg,@function
fft_rtc_fwd_len2880_factors_10_6_6_2_2_2_wgs_96_tpt_96_halfLds_sp_ip_CI_unitstride_sbrr_dirReg: ; @fft_rtc_fwd_len2880_factors_10_6_6_2_2_2_wgs_96_tpt_96_halfLds_sp_ip_CI_unitstride_sbrr_dirReg
; %bb.0:
	s_load_dwordx2 s[12:13], s[4:5], 0x50
	s_load_dwordx4 s[8:11], s[4:5], 0x0
	s_load_dwordx2 s[2:3], s[4:5], 0x18
	v_mul_u32_u24_e32 v1, 0x2ab, v0
	v_add_u32_sdwa v5, s6, v1 dst_sel:DWORD dst_unused:UNUSED_PAD src0_sel:DWORD src1_sel:WORD_1
	v_mov_b32_e32 v3, 0
	s_waitcnt lgkmcnt(0)
	v_cmp_lt_u64_e64 s[0:1], s[10:11], 2
	v_mov_b32_e32 v1, 0
	v_mov_b32_e32 v6, v3
	s_and_b64 vcc, exec, s[0:1]
	v_mov_b32_e32 v2, 0
	s_cbranch_vccnz .LBB0_8
; %bb.1:
	s_load_dwordx2 s[0:1], s[4:5], 0x10
	s_add_u32 s6, s2, 8
	s_addc_u32 s7, s3, 0
	v_mov_b32_e32 v1, 0
	v_mov_b32_e32 v2, 0
	s_waitcnt lgkmcnt(0)
	s_add_u32 s14, s0, 8
	s_addc_u32 s15, s1, 0
	s_mov_b64 s[16:17], 1
.LBB0_2:                                ; =>This Inner Loop Header: Depth=1
	s_load_dwordx2 s[18:19], s[14:15], 0x0
                                        ; implicit-def: $vgpr7_vgpr8
	s_waitcnt lgkmcnt(0)
	v_or_b32_e32 v4, s19, v6
	v_cmp_ne_u64_e32 vcc, 0, v[3:4]
	s_and_saveexec_b64 s[0:1], vcc
	s_xor_b64 s[20:21], exec, s[0:1]
	s_cbranch_execz .LBB0_4
; %bb.3:                                ;   in Loop: Header=BB0_2 Depth=1
	v_cvt_f32_u32_e32 v4, s18
	v_cvt_f32_u32_e32 v7, s19
	s_sub_u32 s0, 0, s18
	s_subb_u32 s1, 0, s19
	v_mac_f32_e32 v4, 0x4f800000, v7
	v_rcp_f32_e32 v4, v4
	v_mul_f32_e32 v4, 0x5f7ffffc, v4
	v_mul_f32_e32 v7, 0x2f800000, v4
	v_trunc_f32_e32 v7, v7
	v_mac_f32_e32 v4, 0xcf800000, v7
	v_cvt_u32_f32_e32 v7, v7
	v_cvt_u32_f32_e32 v4, v4
	v_mul_lo_u32 v8, s0, v7
	v_mul_hi_u32 v9, s0, v4
	v_mul_lo_u32 v11, s1, v4
	v_mul_lo_u32 v10, s0, v4
	v_add_u32_e32 v8, v9, v8
	v_add_u32_e32 v8, v8, v11
	v_mul_hi_u32 v9, v4, v10
	v_mul_lo_u32 v11, v4, v8
	v_mul_hi_u32 v13, v4, v8
	v_mul_hi_u32 v12, v7, v10
	v_mul_lo_u32 v10, v7, v10
	v_mul_hi_u32 v14, v7, v8
	v_add_co_u32_e32 v9, vcc, v9, v11
	v_addc_co_u32_e32 v11, vcc, 0, v13, vcc
	v_mul_lo_u32 v8, v7, v8
	v_add_co_u32_e32 v9, vcc, v9, v10
	v_addc_co_u32_e32 v9, vcc, v11, v12, vcc
	v_addc_co_u32_e32 v10, vcc, 0, v14, vcc
	v_add_co_u32_e32 v8, vcc, v9, v8
	v_addc_co_u32_e32 v9, vcc, 0, v10, vcc
	v_add_co_u32_e32 v4, vcc, v4, v8
	v_addc_co_u32_e32 v7, vcc, v7, v9, vcc
	v_mul_lo_u32 v8, s0, v7
	v_mul_hi_u32 v9, s0, v4
	v_mul_lo_u32 v10, s1, v4
	v_mul_lo_u32 v11, s0, v4
	v_add_u32_e32 v8, v9, v8
	v_add_u32_e32 v8, v8, v10
	v_mul_lo_u32 v12, v4, v8
	v_mul_hi_u32 v13, v4, v11
	v_mul_hi_u32 v14, v4, v8
	;; [unrolled: 1-line block ×3, first 2 shown]
	v_mul_lo_u32 v11, v7, v11
	v_mul_hi_u32 v9, v7, v8
	v_add_co_u32_e32 v12, vcc, v13, v12
	v_addc_co_u32_e32 v13, vcc, 0, v14, vcc
	v_mul_lo_u32 v8, v7, v8
	v_add_co_u32_e32 v11, vcc, v12, v11
	v_addc_co_u32_e32 v10, vcc, v13, v10, vcc
	v_addc_co_u32_e32 v9, vcc, 0, v9, vcc
	v_add_co_u32_e32 v8, vcc, v10, v8
	v_addc_co_u32_e32 v9, vcc, 0, v9, vcc
	v_add_co_u32_e32 v4, vcc, v4, v8
	v_addc_co_u32_e32 v9, vcc, v7, v9, vcc
	v_mad_u64_u32 v[7:8], s[0:1], v5, v9, 0
	v_mul_hi_u32 v10, v5, v4
	v_add_co_u32_e32 v11, vcc, v10, v7
	v_addc_co_u32_e32 v12, vcc, 0, v8, vcc
	v_mad_u64_u32 v[7:8], s[0:1], v6, v4, 0
	v_mad_u64_u32 v[9:10], s[0:1], v6, v9, 0
	v_add_co_u32_e32 v4, vcc, v11, v7
	v_addc_co_u32_e32 v4, vcc, v12, v8, vcc
	v_addc_co_u32_e32 v7, vcc, 0, v10, vcc
	v_add_co_u32_e32 v4, vcc, v4, v9
	v_addc_co_u32_e32 v9, vcc, 0, v7, vcc
	v_mul_lo_u32 v10, s19, v4
	v_mul_lo_u32 v11, s18, v9
	v_mad_u64_u32 v[7:8], s[0:1], s18, v4, 0
	v_add3_u32 v8, v8, v11, v10
	v_sub_u32_e32 v10, v6, v8
	v_mov_b32_e32 v11, s19
	v_sub_co_u32_e32 v7, vcc, v5, v7
	v_subb_co_u32_e64 v10, s[0:1], v10, v11, vcc
	v_subrev_co_u32_e64 v11, s[0:1], s18, v7
	v_subbrev_co_u32_e64 v10, s[0:1], 0, v10, s[0:1]
	v_cmp_le_u32_e64 s[0:1], s19, v10
	v_cndmask_b32_e64 v12, 0, -1, s[0:1]
	v_cmp_le_u32_e64 s[0:1], s18, v11
	v_cndmask_b32_e64 v11, 0, -1, s[0:1]
	v_cmp_eq_u32_e64 s[0:1], s19, v10
	v_cndmask_b32_e64 v10, v12, v11, s[0:1]
	v_add_co_u32_e64 v11, s[0:1], 2, v4
	v_addc_co_u32_e64 v12, s[0:1], 0, v9, s[0:1]
	v_add_co_u32_e64 v13, s[0:1], 1, v4
	v_addc_co_u32_e64 v14, s[0:1], 0, v9, s[0:1]
	v_subb_co_u32_e32 v8, vcc, v6, v8, vcc
	v_cmp_ne_u32_e64 s[0:1], 0, v10
	v_cmp_le_u32_e32 vcc, s19, v8
	v_cndmask_b32_e64 v10, v14, v12, s[0:1]
	v_cndmask_b32_e64 v12, 0, -1, vcc
	v_cmp_le_u32_e32 vcc, s18, v7
	v_cndmask_b32_e64 v7, 0, -1, vcc
	v_cmp_eq_u32_e32 vcc, s19, v8
	v_cndmask_b32_e32 v7, v12, v7, vcc
	v_cmp_ne_u32_e32 vcc, 0, v7
	v_cndmask_b32_e64 v7, v13, v11, s[0:1]
	v_cndmask_b32_e32 v8, v9, v10, vcc
	v_cndmask_b32_e32 v7, v4, v7, vcc
.LBB0_4:                                ;   in Loop: Header=BB0_2 Depth=1
	s_andn2_saveexec_b64 s[0:1], s[20:21]
	s_cbranch_execz .LBB0_6
; %bb.5:                                ;   in Loop: Header=BB0_2 Depth=1
	v_cvt_f32_u32_e32 v4, s18
	s_sub_i32 s20, 0, s18
	v_rcp_iflag_f32_e32 v4, v4
	v_mul_f32_e32 v4, 0x4f7ffffe, v4
	v_cvt_u32_f32_e32 v4, v4
	v_mul_lo_u32 v7, s20, v4
	v_mul_hi_u32 v7, v4, v7
	v_add_u32_e32 v4, v4, v7
	v_mul_hi_u32 v4, v5, v4
	v_mul_lo_u32 v7, v4, s18
	v_add_u32_e32 v8, 1, v4
	v_sub_u32_e32 v7, v5, v7
	v_subrev_u32_e32 v9, s18, v7
	v_cmp_le_u32_e32 vcc, s18, v7
	v_cndmask_b32_e32 v7, v7, v9, vcc
	v_cndmask_b32_e32 v4, v4, v8, vcc
	v_add_u32_e32 v8, 1, v4
	v_cmp_le_u32_e32 vcc, s18, v7
	v_cndmask_b32_e32 v7, v4, v8, vcc
	v_mov_b32_e32 v8, v3
.LBB0_6:                                ;   in Loop: Header=BB0_2 Depth=1
	s_or_b64 exec, exec, s[0:1]
	v_mul_lo_u32 v4, v8, s18
	v_mul_lo_u32 v11, v7, s19
	v_mad_u64_u32 v[9:10], s[0:1], v7, s18, 0
	s_load_dwordx2 s[0:1], s[6:7], 0x0
	s_add_u32 s16, s16, 1
	v_add3_u32 v4, v10, v11, v4
	v_sub_co_u32_e32 v5, vcc, v5, v9
	v_subb_co_u32_e32 v4, vcc, v6, v4, vcc
	s_waitcnt lgkmcnt(0)
	v_mul_lo_u32 v4, s0, v4
	v_mul_lo_u32 v6, s1, v5
	v_mad_u64_u32 v[1:2], s[0:1], s0, v5, v[1:2]
	s_addc_u32 s17, s17, 0
	s_add_u32 s6, s6, 8
	v_add3_u32 v2, v6, v2, v4
	v_mov_b32_e32 v4, s10
	v_mov_b32_e32 v5, s11
	s_addc_u32 s7, s7, 0
	v_cmp_ge_u64_e32 vcc, s[16:17], v[4:5]
	s_add_u32 s14, s14, 8
	s_addc_u32 s15, s15, 0
	s_cbranch_vccnz .LBB0_9
; %bb.7:                                ;   in Loop: Header=BB0_2 Depth=1
	v_mov_b32_e32 v5, v7
	v_mov_b32_e32 v6, v8
	s_branch .LBB0_2
.LBB0_8:
	v_mov_b32_e32 v8, v6
	v_mov_b32_e32 v7, v5
.LBB0_9:
	s_lshl_b64 s[0:1], s[10:11], 3
	s_add_u32 s0, s2, s0
	s_addc_u32 s1, s3, s1
	s_load_dwordx2 s[2:3], s[0:1], 0x0
	s_load_dwordx2 s[6:7], s[4:5], 0x20
                                        ; implicit-def: $vgpr6
	s_waitcnt lgkmcnt(0)
	v_mad_u64_u32 v[2:3], s[0:1], s2, v7, v[1:2]
	s_mov_b32 s0, 0x2aaaaab
	v_mul_hi_u32 v1, v0, s0
	v_mul_lo_u32 v4, s2, v8
	v_mul_lo_u32 v5, s3, v7
	v_cmp_gt_u64_e32 vcc, s[6:7], v[7:8]
	v_cmp_le_u64_e64 s[0:1], s[6:7], v[7:8]
	v_mul_u32_u24_e32 v1, 0x60, v1
	v_add3_u32 v3, v5, v3, v4
	v_sub_u32_e32 v0, v0, v1
                                        ; implicit-def: $vgpr7
                                        ; implicit-def: $vgpr4
	s_and_saveexec_b64 s[2:3], s[0:1]
	s_xor_b64 s[0:1], exec, s[2:3]
; %bb.10:
	v_mov_b32_e32 v1, 0
	v_or_b32_e32 v7, 0x180, v0
	v_or_b32_e32 v6, 0x300, v0
	;; [unrolled: 1-line block ×3, first 2 shown]
	v_mov_b32_e32 v8, v1
; %bb.11:
	s_or_saveexec_b64 s[2:3], s[0:1]
	v_lshlrev_b64 v[2:3], 3, v[2:3]
                                        ; implicit-def: $vgpr16
                                        ; implicit-def: $vgpr34
                                        ; implicit-def: $vgpr32
                                        ; implicit-def: $vgpr36
                                        ; implicit-def: $vgpr38
                                        ; implicit-def: $vgpr14
                                        ; implicit-def: $vgpr48
                                        ; implicit-def: $vgpr54
                                        ; implicit-def: $vgpr50
                                        ; implicit-def: $vgpr56
                                        ; implicit-def: $vgpr10
                                        ; implicit-def: $vgpr22
                                        ; implicit-def: $vgpr20
                                        ; implicit-def: $vgpr24
                                        ; implicit-def: $vgpr26
                                        ; implicit-def: $vgpr30
                                        ; implicit-def: $vgpr28
                                        ; implicit-def: $vgpr18
                                        ; implicit-def: $vgpr64
                                        ; implicit-def: $vgpr12
                                        ; implicit-def: $vgpr58
                                        ; implicit-def: $vgpr60
                                        ; implicit-def: $vgpr62
                                        ; implicit-def: $vgpr66
                                        ; implicit-def: $vgpr52
                                        ; implicit-def: $vgpr46
                                        ; implicit-def: $vgpr42
                                        ; implicit-def: $vgpr44
                                        ; implicit-def: $vgpr68
                                        ; implicit-def: $vgpr40
	s_xor_b64 exec, exec, s[2:3]
	s_cbranch_execz .LBB0_13
; %bb.12:
	v_mov_b32_e32 v1, 0
	v_mov_b32_e32 v4, s13
	v_add_co_u32_e64 v12, s[0:1], s12, v2
	v_addc_co_u32_e64 v13, s[0:1], v4, v3, s[0:1]
	v_lshlrev_b64 v[4:5], 3, v[0:1]
	v_mov_b32_e32 v7, v1
	v_add_co_u32_e64 v21, s[0:1], v12, v4
	v_addc_co_u32_e64 v22, s[0:1], v13, v5, s[0:1]
	s_movk_i32 s0, 0x1000
	v_or_b32_e32 v4, 0x480, v0
	v_mov_b32_e32 v5, v1
	v_add_co_u32_e64 v23, s[0:1], s0, v21
	v_lshlrev_b64 v[5:6], 3, v[4:5]
	v_addc_co_u32_e64 v24, s[0:1], 0, v22, s[0:1]
	v_add_co_u32_e64 v8, s[0:1], v12, v5
	v_addc_co_u32_e64 v9, s[0:1], v13, v6, s[0:1]
	s_movk_i32 s0, 0x2000
	v_add_co_u32_e64 v25, s[0:1], s0, v21
	v_addc_co_u32_e64 v26, s[0:1], 0, v22, s[0:1]
	s_movk_i32 s0, 0x3000
	v_or_b32_e32 v5, 0x900, v0
	v_mov_b32_e32 v6, v1
	v_add_co_u32_e64 v27, s[0:1], s0, v21
	v_lshlrev_b64 v[5:6], 3, v[5:6]
	v_addc_co_u32_e64 v28, s[0:1], 0, v22, s[0:1]
	v_add_co_u32_e64 v29, s[0:1], v12, v5
	v_addc_co_u32_e64 v30, s[0:1], v13, v6, s[0:1]
	s_movk_i32 s0, 0x5000
	v_or_b32_e32 v5, 0x600, v0
	v_mov_b32_e32 v6, v1
	v_add_co_u32_e64 v69, s[0:1], s0, v21
	v_lshlrev_b64 v[5:6], 3, v[5:6]
	v_addc_co_u32_e64 v70, s[0:1], 0, v22, s[0:1]
	v_add_co_u32_e64 v71, s[0:1], v12, v5
	v_addc_co_u32_e64 v72, s[0:1], v13, v6, s[0:1]
	v_or_b32_e32 v5, 0xa80, v0
	v_mov_b32_e32 v6, v1
	v_lshlrev_b64 v[5:6], 3, v[5:6]
	global_load_dwordx2 v[67:68], v[23:24], off offset:2816
	v_add_co_u32_e64 v73, s[0:1], v12, v5
	v_addc_co_u32_e64 v74, s[0:1], v13, v6, s[0:1]
	v_or_b32_e32 v6, 0x300, v0
	v_lshlrev_b64 v[10:11], 3, v[6:7]
	global_load_dwordx2 v[47:48], v[23:24], off offset:1280
	global_load_dwordx2 v[63:64], v[25:26], off offset:256
	global_load_dwordx2 v[31:32], v[8:9], off
	global_load_dwordx2 v[65:66], v[23:24], off offset:3584
	v_add_co_u32_e64 v75, s[0:1], v12, v10
	v_addc_co_u32_e64 v76, s[0:1], v13, v11, s[0:1]
	v_or_b32_e32 v10, 0x780, v0
	v_mov_b32_e32 v11, v1
	v_lshlrev_b64 v[10:11], 3, v[10:11]
	v_add_co_u32_e64 v77, s[0:1], v12, v10
	v_addc_co_u32_e64 v78, s[0:1], v13, v11, s[0:1]
	s_movk_i32 s0, 0x4000
	v_add_co_u32_e64 v7, s[0:1], s0, v21
	v_addc_co_u32_e64 v8, s[0:1], 0, v22, s[0:1]
	global_load_dwordx2 v[15:16], v[21:22], off
	global_load_dwordx2 v[13:14], v[21:22], off offset:768
	global_load_dwordx2 v[51:52], v[21:22], off offset:3072
	;; [unrolled: 1-line block ×7, first 2 shown]
	global_load_dwordx2 v[37:38], v[29:30], off
	global_load_dwordx2 v[41:42], v[27:28], off offset:3840
	global_load_dwordx2 v[49:50], v[27:28], off offset:2304
	;; [unrolled: 1-line block ×6, first 2 shown]
                                        ; kill: killed $vgpr29 killed $vgpr30
                                        ; kill: killed $vgpr25 killed $vgpr26
                                        ; kill: killed $vgpr27 killed $vgpr28
                                        ; kill: killed $vgpr21 killed $vgpr22
                                        ; kill: killed $vgpr23 killed $vgpr24
	global_load_dwordx2 v[21:22], v[75:76], off
	global_load_dwordx2 v[23:24], v[77:78], off
	;; [unrolled: 1-line block ×3, first 2 shown]
	s_nop 0
	global_load_dwordx2 v[25:26], v[7:8], off offset:3584
	global_load_dwordx2 v[55:56], v[7:8], off offset:2816
	global_load_dwordx2 v[27:28], v[7:8], off offset:1280
	global_load_dwordx2 v[45:46], v[69:70], off offset:256
	global_load_dwordx2 v[59:60], v[7:8], off offset:512
	global_load_dwordx2 v[61:62], v[71:72], off
	global_load_dwordx2 v[29:30], v[69:70], off offset:1792
	v_or_b32_e32 v7, 0x180, v0
	v_mov_b32_e32 v8, v1
.LBB0_13:
	s_or_b64 exec, exec, s[2:3]
	s_waitcnt vmcnt(19)
	v_sub_f32_e32 v69, v33, v31
	s_waitcnt vmcnt(16)
	v_sub_f32_e32 v70, v37, v35
	v_add_f32_e32 v5, v31, v35
	v_add_f32_e32 v69, v69, v70
	;; [unrolled: 1-line block ×4, first 2 shown]
	v_fma_f32 v5, -0.5, v5, v15
	v_fmac_f32_e32 v15, -0.5, v70
	v_sub_f32_e32 v70, v31, v33
	v_sub_f32_e32 v71, v35, v37
	v_add_f32_e32 v73, v70, v71
	v_sub_f32_e32 v70, v32, v36
	v_mov_b32_e32 v71, v15
	v_fmac_f32_e32 v71, 0xbf737871, v70
	v_sub_f32_e32 v72, v34, v38
	v_fmac_f32_e32 v15, 0x3f737871, v70
	v_fmac_f32_e32 v71, 0x3f167918, v72
	;; [unrolled: 1-line block ×5, first 2 shown]
	s_waitcnt vmcnt(11)
	v_sub_f32_e32 v73, v67, v43
	s_waitcnt vmcnt(3)
	v_sub_f32_e32 v74, v45, v41
	v_add_f32_e32 v73, v74, v73
	v_add_f32_e32 v74, v41, v43
	v_fma_f32 v82, -0.5, v74, v39
	v_add_f32_e32 v74, v45, v67
	v_add_f32_e32 v78, v67, v39
	v_fmac_f32_e32 v39, -0.5, v74
	v_sub_f32_e32 v74, v43, v67
	v_sub_f32_e32 v75, v41, v45
	v_add_f32_e32 v76, v75, v74
	v_sub_f32_e32 v74, v44, v42
	v_mov_b32_e32 v83, v39
	v_fmac_f32_e32 v83, 0xbf737871, v74
	v_sub_f32_e32 v75, v68, v46
	v_fmac_f32_e32 v39, 0x3f737871, v74
	v_fmac_f32_e32 v83, 0x3f167918, v75
	;; [unrolled: 1-line block ×5, first 2 shown]
	v_sub_f32_e32 v76, v68, v44
	v_sub_f32_e32 v79, v46, v42
	v_add_f32_e32 v76, v79, v76
	v_add_f32_e32 v79, v42, v44
	v_fma_f32 v84, -0.5, v79, v40
	v_add_f32_e32 v79, v46, v68
	v_sub_f32_e32 v80, v43, v41
	v_add_f32_e32 v43, v43, v78
	v_add_f32_e32 v85, v68, v40
	v_fmac_f32_e32 v40, -0.5, v79
	v_add_f32_e32 v41, v41, v43
	v_mov_b32_e32 v86, v40
	v_add_f32_e32 v89, v45, v41
	v_mov_b32_e32 v41, v82
	v_sub_f32_e32 v79, v67, v45
	v_sub_f32_e32 v67, v44, v68
	;; [unrolled: 1-line block ×3, first 2 shown]
	v_fmac_f32_e32 v86, 0x3f737871, v80
	v_fmac_f32_e32 v40, 0xbf737871, v80
	;; [unrolled: 1-line block ×3, first 2 shown]
	v_mov_b32_e32 v45, v84
	v_add_f32_e32 v67, v68, v67
	v_fmac_f32_e32 v86, 0xbf167918, v79
	v_fmac_f32_e32 v40, 0x3f167918, v79
	v_mov_b32_e32 v88, v5
	v_fmac_f32_e32 v41, 0x3f167918, v74
	v_fmac_f32_e32 v45, 0xbf737871, v79
	v_fmac_f32_e32 v86, 0x3e9e377a, v67
	v_fmac_f32_e32 v40, 0x3e9e377a, v67
	v_add_f32_e32 v67, v77, v31
	v_fmac_f32_e32 v88, 0x3f737871, v72
	v_fmac_f32_e32 v41, 0x3e9e377a, v73
	v_fmac_f32_e32 v45, 0xbf167918, v80
	v_fmac_f32_e32 v82, 0xbf737871, v75
	v_add_f32_e32 v67, v67, v35
	s_mov_b32 s0, 0x3f737871
	v_fmac_f32_e32 v88, 0x3f167918, v70
	v_fmac_f32_e32 v45, 0x3e9e377a, v76
	v_mul_f32_e32 v90, 0x3f4f1bbd, v41
	v_mul_f32_e32 v91, 0x3e9e377a, v83
	;; [unrolled: 1-line block ×3, first 2 shown]
	v_fmac_f32_e32 v5, 0xbf737871, v72
	v_fmac_f32_e32 v82, 0xbf167918, v74
	;; [unrolled: 1-line block ×3, first 2 shown]
	v_add_f32_e32 v81, v67, v37
	v_fmac_f32_e32 v88, 0x3e9e377a, v69
	v_fmac_f32_e32 v90, 0x3f167918, v45
	;; [unrolled: 1-line block ×3, first 2 shown]
	v_fma_f32 v43, v40, s0, -v43
	v_mul_u32_u24_e32 v87, 10, v0
	v_fmac_f32_e32 v5, 0xbf167918, v70
	v_fmac_f32_e32 v82, 0x3e9e377a, v73
	;; [unrolled: 1-line block ×3, first 2 shown]
	v_add_f32_e32 v67, v81, v89
	v_add_f32_e32 v68, v88, v90
	;; [unrolled: 1-line block ×4, first 2 shown]
	v_lshl_add_u32 v87, v87, 2, 0
	v_fmac_f32_e32 v5, 0x3e9e377a, v69
	v_fmac_f32_e32 v84, 0x3e9e377a, v76
	s_mov_b32 s1, 0x3f167918
	v_mul_f32_e32 v69, 0x3f4f1bbd, v82
	ds_write2_b64 v87, v[67:68], v[77:78] offset1:1
	v_sub_f32_e32 v68, v71, v91
	v_fma_f32 v71, v84, s1, -v69
	v_sub_f32_e32 v67, v88, v90
	v_sub_f32_e32 v70, v81, v89
	v_add_f32_e32 v69, v5, v71
	ds_write2_b64 v87, v[69:70], v[67:68] offset0:2 offset1:3
	v_sub_f32_e32 v67, v47, v53
	v_sub_f32_e32 v68, v55, v49
	v_add_f32_e32 v69, v67, v68
	v_add_f32_e32 v67, v53, v49
	;; [unrolled: 1-line block ×3, first 2 shown]
	v_fma_f32 v70, -0.5, v67, v13
	v_add_f32_e32 v67, v13, v47
	v_fmac_f32_e32 v13, -0.5, v68
	v_sub_f32_e32 v68, v53, v47
	v_sub_f32_e32 v72, v49, v55
	v_add_f32_e32 v68, v68, v72
	v_sub_f32_e32 v72, v54, v50
	v_mov_b32_e32 v73, v13
	v_fmac_f32_e32 v73, 0xbf737871, v72
	v_sub_f32_e32 v74, v48, v56
	v_fmac_f32_e32 v13, 0x3f737871, v72
	v_fmac_f32_e32 v73, 0x3f167918, v74
	;; [unrolled: 1-line block ×5, first 2 shown]
	s_waitcnt vmcnt(1)
	v_sub_f32_e32 v68, v65, v61
	v_sub_f32_e32 v75, v57, v59
	v_add_f32_e32 v75, v75, v68
	v_add_f32_e32 v68, v59, v61
	;; [unrolled: 1-line block ×3, first 2 shown]
	v_fma_f32 v88, -0.5, v68, v51
	v_add_f32_e32 v68, v65, v51
	v_fmac_f32_e32 v51, -0.5, v76
	v_sub_f32_e32 v76, v61, v65
	v_sub_f32_e32 v77, v59, v57
	v_add_f32_e32 v76, v77, v76
	v_sub_f32_e32 v77, v62, v60
	v_mov_b32_e32 v78, v51
	v_fmac_f32_e32 v78, 0xbf737871, v77
	v_sub_f32_e32 v79, v66, v58
	v_fmac_f32_e32 v51, 0x3f737871, v77
	v_fmac_f32_e32 v78, 0x3f167918, v79
	;; [unrolled: 1-line block ×5, first 2 shown]
	v_sub_f32_e32 v76, v66, v62
	v_sub_f32_e32 v80, v58, v60
	v_add_f32_e32 v76, v80, v76
	v_add_f32_e32 v80, v60, v62
	;; [unrolled: 1-line block ×3, first 2 shown]
	v_sub_f32_e32 v90, v61, v59
	v_add_f32_e32 v61, v61, v68
	v_fma_f32 v89, -0.5, v80, v52
	v_add_f32_e32 v80, v66, v52
	v_fmac_f32_e32 v52, -0.5, v81
	v_add_f32_e32 v59, v59, v61
	v_sub_f32_e32 v81, v65, v57
	v_mov_b32_e32 v91, v52
	v_add_f32_e32 v57, v57, v59
	v_mov_b32_e32 v59, v88
	v_sub_f32_e32 v65, v62, v66
	v_sub_f32_e32 v66, v60, v58
	v_fmac_f32_e32 v91, 0x3f737871, v90
	v_fmac_f32_e32 v52, 0xbf737871, v90
	v_fmac_f32_e32 v59, 0x3f737871, v79
	v_mov_b32_e32 v61, v89
	v_add_f32_e32 v65, v66, v65
	v_fmac_f32_e32 v91, 0xbf167918, v81
	v_fmac_f32_e32 v52, 0x3f167918, v81
	v_mov_b32_e32 v93, v70
	v_fmac_f32_e32 v59, 0x3f167918, v77
	v_fmac_f32_e32 v61, 0xbf737871, v81
	v_fmac_f32_e32 v91, 0x3e9e377a, v65
	v_fmac_f32_e32 v52, 0x3e9e377a, v65
	v_add_f32_e32 v65, v67, v53
	v_fmac_f32_e32 v93, 0x3f737871, v74
	v_fmac_f32_e32 v59, 0x3e9e377a, v75
	v_fmac_f32_e32 v61, 0xbf167918, v90
	v_add_f32_e32 v65, v65, v49
	v_fmac_f32_e32 v93, 0x3f167918, v72
	v_fmac_f32_e32 v61, 0x3e9e377a, v76
	v_mul_f32_e32 v94, 0x3f4f1bbd, v59
	v_mul_f32_e32 v95, 0x3e9e377a, v78
	v_mul_f32_e32 v67, 0x3e9e377a, v51
	v_fmac_f32_e32 v88, 0xbf737871, v79
	v_add_f32_e32 v92, v65, v55
	v_fmac_f32_e32 v93, 0x3e9e377a, v69
	v_fmac_f32_e32 v94, 0x3f167918, v61
	;; [unrolled: 1-line block ×3, first 2 shown]
	v_fma_f32 v96, v52, s0, -v67
	v_fmac_f32_e32 v88, 0xbf167918, v77
	v_fmac_f32_e32 v89, 0x3f737871, v81
	v_add_f32_e32 v65, v92, v57
	v_add_f32_e32 v66, v93, v94
	;; [unrolled: 1-line block ×4, first 2 shown]
	v_add_u32_e32 v97, 0xf00, v87
	v_fmac_f32_e32 v70, 0xbf737871, v74
	v_fmac_f32_e32 v88, 0x3e9e377a, v75
	;; [unrolled: 1-line block ×3, first 2 shown]
	ds_write2_b64 v97, v[65:66], v[67:68] offset1:1
	v_fmac_f32_e32 v70, 0xbf167918, v72
	v_fmac_f32_e32 v89, 0x3e9e377a, v76
	v_mul_f32_e32 v67, 0x3f4f1bbd, v88
	v_fmac_f32_e32 v70, 0x3e9e377a, v69
	v_fma_f32 v69, v89, s1, -v67
	v_sub_f32_e32 v65, v93, v94
	v_sub_f32_e32 v66, v73, v95
	;; [unrolled: 1-line block ×3, first 2 shown]
	v_add_f32_e32 v67, v70, v69
	v_add_u32_e32 v90, 0xf10, v87
	ds_write2_b64 v90, v[67:68], v[65:66] offset1:1
	v_sub_f32_e32 v57, v21, v19
	v_sub_f32_e32 v65, v25, v23
	v_add_f32_e32 v57, v57, v65
	v_add_f32_e32 v65, v19, v23
	;; [unrolled: 1-line block ×3, first 2 shown]
	v_fma_f32 v67, -0.5, v65, v9
	v_add_f32_e32 v65, v9, v21
	v_fmac_f32_e32 v9, -0.5, v66
	v_sub_f32_e32 v66, v19, v21
	v_sub_f32_e32 v68, v23, v25
	v_add_f32_e32 v66, v66, v68
	v_sub_f32_e32 v68, v20, v24
	v_mov_b32_e32 v72, v9
	v_fmac_f32_e32 v72, 0xbf737871, v68
	v_sub_f32_e32 v73, v22, v26
	v_fmac_f32_e32 v9, 0x3f737871, v68
	v_fmac_f32_e32 v72, 0x3f167918, v73
	;; [unrolled: 1-line block ×5, first 2 shown]
	v_sub_f32_e32 v66, v63, v17
	s_waitcnt vmcnt(0)
	v_sub_f32_e32 v74, v29, v27
	v_add_f32_e32 v74, v74, v66
	v_add_f32_e32 v66, v27, v17
	;; [unrolled: 1-line block ×3, first 2 shown]
	v_fma_f32 v95, -0.5, v66, v11
	v_add_f32_e32 v66, v63, v11
	v_fmac_f32_e32 v11, -0.5, v75
	v_sub_f32_e32 v75, v17, v63
	v_sub_f32_e32 v76, v27, v29
	v_add_f32_e32 v75, v76, v75
	v_sub_f32_e32 v76, v18, v28
	v_mov_b32_e32 v98, v11
	v_fmac_f32_e32 v98, 0xbf737871, v76
	v_sub_f32_e32 v77, v64, v30
	v_fmac_f32_e32 v11, 0x3f737871, v76
	v_fmac_f32_e32 v98, 0x3f167918, v77
	;; [unrolled: 1-line block ×5, first 2 shown]
	v_sub_f32_e32 v75, v64, v18
	v_sub_f32_e32 v79, v30, v28
	v_add_f32_e32 v75, v79, v75
	v_add_f32_e32 v79, v28, v18
	v_fma_f32 v99, -0.5, v79, v12
	v_add_f32_e32 v79, v30, v64
	v_add_f32_e32 v100, v64, v12
	v_fmac_f32_e32 v12, -0.5, v79
	v_sub_f32_e32 v81, v17, v27
	v_mov_b32_e32 v101, v12
	v_mov_b32_e32 v102, v95
	v_sub_f32_e32 v79, v63, v29
	v_sub_f32_e32 v63, v18, v64
	;; [unrolled: 1-line block ×3, first 2 shown]
	v_fmac_f32_e32 v101, 0x3f737871, v81
	v_fmac_f32_e32 v12, 0xbf737871, v81
	;; [unrolled: 1-line block ×3, first 2 shown]
	v_mov_b32_e32 v103, v99
	v_add_f32_e32 v63, v64, v63
	v_fmac_f32_e32 v101, 0xbf167918, v79
	v_fmac_f32_e32 v12, 0x3f167918, v79
	v_mov_b32_e32 v93, v67
	v_add_f32_e32 v17, v17, v66
	v_fmac_f32_e32 v102, 0x3f167918, v76
	v_fmac_f32_e32 v103, 0xbf737871, v79
	;; [unrolled: 1-line block ×4, first 2 shown]
	v_add_f32_e32 v63, v65, v19
	v_fmac_f32_e32 v93, 0x3f737871, v73
	v_add_f32_e32 v17, v27, v17
	v_fmac_f32_e32 v102, 0x3e9e377a, v74
	v_fmac_f32_e32 v103, 0xbf167918, v81
	v_add_f32_e32 v63, v63, v23
	v_fmac_f32_e32 v93, 0x3f167918, v68
	v_add_f32_e32 v17, v29, v17
	v_fmac_f32_e32 v103, 0x3e9e377a, v75
	v_mul_f32_e32 v27, 0x3f4f1bbd, v102
	v_mul_f32_e32 v29, 0x3e9e377a, v98
	;; [unrolled: 1-line block ×3, first 2 shown]
	v_fmac_f32_e32 v95, 0xbf737871, v77
	v_add_f32_e32 v92, v63, v25
	v_fmac_f32_e32 v93, 0x3e9e377a, v57
	v_fmac_f32_e32 v27, 0x3f167918, v103
	;; [unrolled: 1-line block ×3, first 2 shown]
	v_fma_f32 v94, v12, s0, -v65
	v_fmac_f32_e32 v95, 0xbf167918, v76
	v_fmac_f32_e32 v99, 0x3f737871, v79
	v_add_f32_e32 v63, v92, v17
	v_add_f32_e32 v64, v93, v27
	;; [unrolled: 1-line block ×4, first 2 shown]
	v_add_u32_e32 v104, 0x1e00, v87
	v_fmac_f32_e32 v67, 0xbf737871, v73
	v_fmac_f32_e32 v95, 0x3e9e377a, v74
	;; [unrolled: 1-line block ×3, first 2 shown]
	ds_write2_b64 v104, v[63:64], v[65:66] offset1:1
	v_sub_f32_e32 v63, v93, v27
	v_fmac_f32_e32 v67, 0xbf167918, v68
	v_fmac_f32_e32 v99, 0x3e9e377a, v75
	v_mul_f32_e32 v27, 0x3f4f1bbd, v95
	v_fmac_f32_e32 v67, 0x3e9e377a, v57
	v_fma_f32 v27, v99, s1, -v27
	v_sub_f32_e32 v64, v72, v29
	v_sub_f32_e32 v66, v92, v17
	v_add_f32_e32 v65, v67, v27
	v_add_u32_e32 v105, 0x1e10, v87
	ds_write2_b64 v105, v[65:66], v[63:64] offset1:1
	v_sub_f32_e32 v64, v5, v71
	v_sub_f32_e32 v63, v15, v43
	v_add_f32_e32 v5, v14, v48
	ds_write_b64 v87, v[63:64] offset:32
	v_sub_f32_e32 v64, v70, v69
	v_sub_f32_e32 v63, v13, v96
	v_add_f32_e32 v5, v5, v54
	ds_write_b64 v87, v[63:64] offset:3872
	v_sub_f32_e32 v64, v67, v27
	v_sub_f32_e32 v63, v9, v94
	v_add_f32_e32 v9, v54, v50
	v_add_f32_e32 v27, v48, v56
	;; [unrolled: 1-line block ×5, first 2 shown]
	v_fma_f32 v110, -0.5, v9, v14
	v_fmac_f32_e32 v14, -0.5, v27
	v_sub_f32_e32 v17, v53, v49
	v_sub_f32_e32 v96, v47, v55
	v_add_f32_e32 v5, v60, v5
	v_mov_b32_e32 v111, v14
	v_mov_b32_e32 v114, v110
	v_sub_f32_e32 v13, v48, v54
	v_sub_f32_e32 v15, v54, v48
	;; [unrolled: 1-line block ×4, first 2 shown]
	v_add_f32_e32 v107, v58, v5
	s_mov_b32 s0, 0xbf737871
	v_mul_f32_e32 v5, 0x3e9e377a, v52
	v_fmac_f32_e32 v111, 0x3f737871, v17
	v_fmac_f32_e32 v14, 0xbf737871, v17
	;; [unrolled: 1-line block ×3, first 2 shown]
	v_fma_f32 v108, v51, s0, -v5
	v_add_f32_e32 v109, v13, v29
	v_add_f32_e32 v5, v15, v43
	v_fmac_f32_e32 v111, 0xbf167918, v96
	v_fmac_f32_e32 v14, 0x3f167918, v96
	v_mul_f32_e32 v112, 0xbf167918, v59
	v_mul_f32_e32 v113, 0xbf737871, v78
	v_fmac_f32_e32 v114, 0xbf167918, v17
	v_add_f32_e32 v15, v16, v34
	v_fmac_f32_e32 v111, 0x3e9e377a, v5
	v_fmac_f32_e32 v14, 0x3e9e377a, v5
	;; [unrolled: 1-line block ×4, first 2 shown]
	s_movk_i32 s1, 0xffdc
	v_fmac_f32_e32 v114, 0x3e9e377a, v109
	v_add_f32_e32 v15, v15, v32
	v_mad_i32_i24 v71, v0, s1, v87
	v_lshl_add_u32 v79, v7, 2, 0
	v_add_f32_e32 v92, v14, v108
	v_add_f32_e32 v91, v111, v113
	;; [unrolled: 1-line block ×5, first 2 shown]
	ds_write_b64 v87, v[63:64] offset:7712
	s_waitcnt lgkmcnt(0)
	s_barrier
	v_add_u32_e32 v43, 0x600, v71
	v_add_u32_e32 v80, 0xc00, v71
	;; [unrolled: 1-line block ×13, first 2 shown]
	ds_read_b32 v9, v79
	ds_read_b32 v13, v71 offset:11136
	ds_read2_b32 v[49:50], v71 offset1:96
	ds_read2_b32 v[117:118], v43 offset0:96 offset1:192
	ds_read2_b32 v[65:66], v80 offset0:96 offset1:192
	;; [unrolled: 1-line block ×13, first 2 shown]
	s_waitcnt lgkmcnt(0)
	s_barrier
	ds_write2_b64 v97, v[93:94], v[91:92] offset1:1
	v_add_f32_e32 v91, v32, v36
	v_sub_f32_e32 v35, v31, v35
	v_sub_f32_e32 v31, v34, v32
	;; [unrolled: 1-line block ×4, first 2 shown]
	v_add_f32_e32 v33, v34, v38
	v_sub_f32_e32 v34, v38, v36
	v_sub_f32_e32 v36, v36, v38
	v_add_f32_e32 v15, v15, v38
	v_add_f32_e32 v38, v44, v85
	;; [unrolled: 1-line block ×3, first 2 shown]
	v_mul_f32_e32 v40, 0x3e9e377a, v40
	v_fma_f32 v42, -0.5, v91, v16
	v_fmac_f32_e32 v16, -0.5, v33
	v_mul_f32_e32 v41, 0xbf167918, v41
	v_fma_f32 v39, v39, s0, -v40
	v_add_f32_e32 v40, v31, v34
	v_add_f32_e32 v31, v32, v36
	v_mov_b32_e32 v36, v16
	v_fmac_f32_e32 v41, 0x3f4f1bbd, v45
	v_mov_b32_e32 v45, v42
	v_fmac_f32_e32 v36, 0x3f737871, v35
	v_fmac_f32_e32 v16, 0xbf737871, v35
	;; [unrolled: 1-line block ×5, first 2 shown]
	v_mul_f32_e32 v44, 0xbf737871, v83
	v_fmac_f32_e32 v45, 0xbf167918, v35
	v_add_f32_e32 v38, v46, v38
	v_fmac_f32_e32 v36, 0x3e9e377a, v31
	v_fmac_f32_e32 v16, 0x3e9e377a, v31
	;; [unrolled: 1-line block ×4, first 2 shown]
	v_add_f32_e32 v31, v15, v38
	v_add_f32_e32 v32, v45, v41
	v_add_f32_e32 v33, v36, v44
	v_add_f32_e32 v34, v16, v39
	v_fmac_f32_e32 v42, 0x3f737871, v37
	ds_write2_b64 v87, v[31:32], v[33:34] offset1:1
	v_fmac_f32_e32 v42, 0x3f167918, v35
	s_mov_b32 s1, 0xbf167918
	v_mul_f32_e32 v33, 0x3f4f1bbd, v84
	v_fmac_f32_e32 v110, 0x3f737871, v96
	v_fmac_f32_e32 v42, 0x3e9e377a, v40
	v_fma_f32 v35, v82, s1, -v33
	v_fmac_f32_e32 v110, 0x3f167918, v17
	v_mul_f32_e32 v17, 0x3f4f1bbd, v89
	v_sub_f32_e32 v31, v45, v41
	v_sub_f32_e32 v32, v36, v44
	;; [unrolled: 1-line block ×3, first 2 shown]
	v_add_f32_e32 v33, v42, v35
	v_fmac_f32_e32 v110, 0x3e9e377a, v109
	v_fma_f32 v17, v88, s1, -v17
	ds_write2_b64 v87, v[33:34], v[31:32] offset0:2 offset1:3
	v_sub_f32_e32 v15, v16, v39
	v_sub_f32_e32 v16, v42, v35
	v_add_f32_e32 v35, v110, v17
	v_sub_f32_e32 v34, v110, v17
	v_add_f32_e32 v17, v20, v24
	v_sub_f32_e32 v19, v19, v23
	v_sub_f32_e32 v23, v22, v20
	;; [unrolled: 1-line block ×4, first 2 shown]
	v_mul_f32_e32 v12, 0x3e9e377a, v12
	v_fma_f32 v12, v11, s0, -v12
	v_add_f32_e32 v11, v23, v25
	v_fma_f32 v25, -0.5, v17, v10
	v_sub_f32_e32 v33, v14, v108
	v_add_f32_e32 v14, v10, v22
	v_mov_b32_e32 v23, v25
	v_add_f32_e32 v14, v14, v20
	v_sub_f32_e32 v20, v20, v22
	v_add_f32_e32 v22, v22, v26
	v_fmac_f32_e32 v23, 0xbf737871, v21
	v_fmac_f32_e32 v25, 0x3f737871, v21
	v_add_f32_e32 v14, v14, v24
	v_sub_f32_e32 v24, v24, v26
	v_fmac_f32_e32 v23, 0xbf167918, v19
	v_fmac_f32_e32 v25, 0x3f167918, v19
	v_fmac_f32_e32 v10, -0.5, v22
	v_fmac_f32_e32 v23, 0x3e9e377a, v11
	v_fmac_f32_e32 v25, 0x3e9e377a, v11
	v_add_f32_e32 v11, v20, v24
	v_mov_b32_e32 v20, v10
	v_fmac_f32_e32 v20, 0x3f737871, v19
	v_fmac_f32_e32 v10, 0xbf737871, v19
	v_add_f32_e32 v18, v18, v100
	v_fmac_f32_e32 v20, 0xbf167918, v21
	v_fmac_f32_e32 v10, 0x3f167918, v21
	v_mul_f32_e32 v19, 0xbf737871, v98
	v_add_f32_e32 v18, v28, v18
	v_fmac_f32_e32 v20, 0x3e9e377a, v11
	v_fmac_f32_e32 v10, 0x3e9e377a, v11
	v_mul_f32_e32 v21, 0xbf167918, v102
	v_fmac_f32_e32 v19, 0x3e9e377a, v101
	v_mul_f32_e32 v11, 0x3f4f1bbd, v99
	v_add_f32_e32 v14, v14, v26
	v_add_f32_e32 v18, v30, v18
	v_fmac_f32_e32 v21, 0x3f4f1bbd, v103
	v_fma_f32 v26, v95, s1, -v11
	v_add_f32_e32 v11, v10, v12
	v_sub_f32_e32 v17, v10, v12
	v_add_f32_e32 v10, v20, v19
	s_movk_i32 s0, 0xcd
	v_sub_f32_e32 v32, v111, v113
	v_sub_f32_e32 v31, v114, v112
	;; [unrolled: 1-line block ×5, first 2 shown]
	v_add_f32_e32 v22, v23, v21
	v_add_f32_e32 v21, v14, v18
	v_sub_f32_e32 v24, v14, v18
	v_add_f32_e32 v23, v25, v26
	v_sub_f32_e32 v18, v25, v26
	ds_write_b64 v87, v[15:16] offset:32
	ds_write2_b64 v90, v[35:36], v[31:32] offset1:1
	ds_write_b64 v87, v[33:34] offset:3872
	ds_write2_b64 v104, v[21:22], v[10:11] offset1:1
	ds_write2_b64 v105, v[23:24], v[19:20] offset1:1
	ds_write_b64 v87, v[17:18] offset:7712
	v_mul_lo_u16_sdwa v10, v0, s0 dst_sel:DWORD dst_unused:UNUSED_PAD src0_sel:BYTE_0 src1_sel:DWORD
	v_lshrrev_b16_e32 v12, 11, v10
	v_mul_lo_u16_e32 v10, 10, v12
	v_sub_u16_e32 v14, v0, v10
	v_mov_b32_e32 v24, 5
	v_mul_u32_u24_sdwa v10, v14, v24 dst_sel:DWORD dst_unused:UNUSED_PAD src0_sel:BYTE_0 src1_sel:DWORD
	v_add_u16_e32 v28, 0x60, v0
	v_lshlrev_b32_e32 v10, 3, v10
	v_mul_lo_u16_sdwa v11, v28, s0 dst_sel:DWORD dst_unused:UNUSED_PAD src0_sel:BYTE_0 src1_sel:DWORD
	s_waitcnt lgkmcnt(0)
	s_barrier
	global_load_dwordx4 v[30:33], v10, s[8:9]
	v_lshrrev_b16_e32 v11, 11, v11
	v_mul_lo_u16_e32 v15, 10, v11
	v_sub_u16_e32 v16, v28, v15
	v_mul_u32_u24_sdwa v15, v16, v24 dst_sel:DWORD dst_unused:UNUSED_PAD src0_sel:BYTE_0 src1_sel:DWORD
	v_add_u32_e32 v26, 0xc0, v0
	s_mov_b32 s0, 0xcccd
	v_lshlrev_b32_e32 v25, 3, v15
	global_load_dwordx4 v[34:37], v25, s[8:9]
	v_mul_u32_u24_sdwa v15, v26, s0 dst_sel:DWORD dst_unused:UNUSED_PAD src0_sel:WORD_0 src1_sel:DWORD
	v_lshrrev_b32_e32 v15, 19, v15
	v_mul_lo_u16_e32 v17, 10, v15
	v_sub_u16_e32 v17, v26, v17
	v_mul_u32_u24_e32 v18, 5, v17
	v_lshlrev_b32_e32 v123, 3, v18
	global_load_dwordx4 v[86:89], v123, s[8:9]
	v_add_u32_e32 v23, 0x120, v0
	v_mul_u32_u24_sdwa v18, v23, s0 dst_sel:DWORD dst_unused:UNUSED_PAD src0_sel:WORD_0 src1_sel:DWORD
	v_lshrrev_b32_e32 v18, 19, v18
	v_mul_lo_u16_e32 v19, 10, v18
	v_sub_u16_e32 v19, v23, v19
	v_mul_u32_u24_e32 v20, 5, v19
	v_lshlrev_b32_e32 v125, 3, v20
	global_load_dwordx4 v[90:93], v125, s[8:9]
	v_mul_u32_u24_sdwa v20, v7, s0 dst_sel:DWORD dst_unused:UNUSED_PAD src0_sel:WORD_0 src1_sel:DWORD
	v_lshrrev_b32_e32 v20, 19, v20
	v_mul_lo_u16_e32 v21, 10, v20
	v_sub_u16_e32 v21, v7, v21
	v_mul_u32_u24_e32 v22, 5, v21
	v_lshlrev_b32_e32 v126, 3, v22
	global_load_dwordx4 v[94:97], v126, s[8:9]
	global_load_dwordx4 v[98:101], v10, s[8:9] offset:16
	global_load_dwordx4 v[102:105], v25, s[8:9] offset:16
	global_load_dwordx4 v[106:109], v123, s[8:9] offset:16
	ds_read2_b32 v[38:39], v43 offset0:96 offset1:192
	ds_read2_b32 v[45:46], v80 offset0:96 offset1:192
	global_load_dwordx4 v[110:113], v125, s[8:9] offset:16
	global_load_dwordx2 v[121:122], v10, s[8:9] offset:32
	v_mul_u32_u24_e32 v12, 0xf0, v12
	global_load_dwordx2 v[123:124], v123, s[8:9] offset:32
	v_mul_u32_u24_e32 v11, 0xf0, v11
	v_mul_u32_u24_e32 v15, 0xf0, v15
	v_lshlrev_b32_e32 v17, 2, v17
	v_cmp_gt_u32_e64 s[0:1], 60, v0
	s_movk_i32 s6, 0x1000
	s_movk_i32 s7, 0x2000
	;; [unrolled: 1-line block ×3, first 2 shown]
	s_waitcnt vmcnt(10) lgkmcnt(1)
	v_mul_f32_e32 v22, v38, v31
	v_fma_f32 v41, v117, v30, -v22
	v_mul_f32_e32 v44, v117, v31
	global_load_dwordx4 v[114:117], v126, s[8:9] offset:16
	v_fmac_f32_e32 v44, v38, v30
	s_waitcnt lgkmcnt(0)
	v_mul_f32_e32 v22, v46, v33
	v_mul_f32_e32 v30, v66, v33
	v_fma_f32 v22, v66, v32, -v22
	v_fmac_f32_e32 v30, v46, v32
	ds_read2_b32 v[31:32], v29 offset0:32 offset1:128
	s_waitcnt vmcnt(10)
	v_mul_f32_e32 v10, v39, v35
	v_fma_f32 v82, v118, v34, -v10
	v_mul_f32_e32 v83, v118, v35
	v_mul_f32_e32 v85, v119, v37
	s_waitcnt lgkmcnt(0)
	v_mul_f32_e32 v10, v31, v37
	v_fma_f32 v84, v119, v36, -v10
	global_load_dwordx2 v[118:119], v25, s[8:9] offset:32
	s_waitcnt vmcnt(10)
	v_mul_f32_e32 v10, v32, v89
	v_mul_f32_e32 v66, v120, v89
	v_fma_f32 v42, v120, v88, -v10
	v_fmac_f32_e32 v66, v32, v88
	global_load_dwordx2 v[88:89], v125, s[8:9] offset:32
	v_fmac_f32_e32 v83, v39, v34
	global_load_dwordx2 v[125:126], v126, s[8:9] offset:32
	ds_read2_b32 v[39:40], v81 offset0:32 offset1:128
	v_mul_f32_e32 v38, v69, v87
	s_waitcnt vmcnt(11)
	v_mul_f32_e32 v37, v70, v91
	s_waitcnt vmcnt(10)
	v_mul_f32_e32 v32, v65, v95
	v_fmac_f32_e32 v32, v45, v94
	s_waitcnt lgkmcnt(0)
	v_mul_f32_e32 v10, v39, v87
	v_fma_f32 v35, v69, v86, -v10
	v_fmac_f32_e32 v38, v39, v86
	ds_read2_b32 v[86:87], v27 offset0:96 offset1:192
	v_mul_f32_e32 v10, v40, v91
	v_fma_f32 v34, v70, v90, -v10
	v_fmac_f32_e32 v85, v31, v36
	v_fmac_f32_e32 v37, v40, v90
	s_waitcnt lgkmcnt(0)
	v_mul_f32_e32 v10, v86, v93
	v_fma_f32 v39, v67, v92, -v10
	v_mul_f32_e32 v10, v45, v95
	v_mul_f32_e32 v25, v87, v97
	ds_read2_b32 v[45:46], v72 offset0:32 offset1:128
	v_mul_f32_e32 v40, v67, v93
	v_fma_f32 v33, v68, v96, -v25
	v_mul_f32_e32 v36, v68, v97
	ds_read2_b32 v[67:68], v76 offset0:96 offset1:192
	s_waitcnt vmcnt(9)
	v_mul_f32_e32 v90, v63, v99
	ds_read2_b32 v[69:70], v75 offset0:32 offset1:128
	s_waitcnt lgkmcnt(2)
	v_mul_f32_e32 v25, v45, v99
	v_fmac_f32_e32 v90, v45, v98
	s_waitcnt vmcnt(8)
	v_mul_f32_e32 v45, v46, v103
	v_fmac_f32_e32 v40, v86, v92
	v_fma_f32 v91, v64, v102, -v45
	v_mul_f32_e32 v92, v64, v103
	s_waitcnt lgkmcnt(1)
	v_mul_f32_e32 v45, v67, v105
	v_fmac_f32_e32 v92, v46, v102
	v_fma_f32 v64, v61, v104, -v45
	ds_read2_b32 v[45:46], v74 offset0:96 offset1:192
	v_fmac_f32_e32 v36, v87, v96
	ds_read2_b32 v[86:87], v77 offset0:32 offset1:128
	v_fma_f32 v25, v63, v98, -v25
	s_waitcnt lgkmcnt(2)
	v_mul_f32_e32 v31, v70, v101
	v_mul_f32_e32 v63, v61, v105
	v_fma_f32 v10, v65, v94, -v10
	v_fma_f32 v31, v56, v100, -v31
	v_mul_f32_e32 v65, v56, v101
	v_fmac_f32_e32 v63, v67, v104
	s_waitcnt vmcnt(7)
	v_mul_f32_e32 v56, v68, v109
	v_mul_f32_e32 v67, v59, v107
	v_fma_f32 v61, v62, v108, -v56
	s_waitcnt lgkmcnt(1)
	v_mul_f32_e32 v56, v45, v107
	v_fmac_f32_e32 v67, v45, v106
	s_waitcnt vmcnt(6)
	v_mul_f32_e32 v45, v46, v111
	v_mul_f32_e32 v62, v62, v109
	v_fma_f32 v93, v60, v110, -v45
	s_waitcnt lgkmcnt(0)
	v_mul_f32_e32 v45, v86, v113
	v_fmac_f32_e32 v62, v68, v108
	v_fma_f32 v68, v59, v106, -v56
	v_fma_f32 v59, v57, v112, -v45
	v_mul_f32_e32 v56, v57, v113
	v_fmac_f32_e32 v65, v70, v100
	v_mul_f32_e32 v94, v60, v111
	v_fmac_f32_e32 v94, v46, v110
	s_waitcnt vmcnt(3)
	v_mul_f32_e32 v57, v55, v115
	v_mul_f32_e32 v45, v69, v115
	v_fmac_f32_e32 v57, v69, v114
	ds_read2_b32 v[69:70], v78 offset0:96 offset1:192
	v_mul_f32_e32 v46, v58, v117
	v_fmac_f32_e32 v56, v86, v112
	v_fma_f32 v60, v55, v114, -v45
	v_mul_f32_e32 v45, v87, v117
	v_fmac_f32_e32 v46, v87, v116
	ds_read2_b32 v[86:87], v5 offset0:32 offset1:128
	s_waitcnt lgkmcnt(1)
	v_mul_f32_e32 v55, v69, v122
	v_fma_f32 v45, v58, v116, -v45
	v_fma_f32 v58, v53, v121, -v55
	v_mul_f32_e32 v55, v53, v122
	v_fmac_f32_e32 v55, v69, v121
	s_waitcnt vmcnt(2)
	v_mul_f32_e32 v53, v70, v119
	ds_read_b32 v69, v71 offset:11136
	v_fma_f32 v95, v54, v118, -v53
	s_waitcnt lgkmcnt(1)
	v_mul_f32_e32 v53, v86, v124
	v_fma_f32 v96, v51, v123, -v53
	v_mul_f32_e32 v53, v51, v124
	s_waitcnt vmcnt(1)
	v_mul_f32_e32 v51, v87, v89
	v_fmac_f32_e32 v53, v86, v123
	v_fma_f32 v86, v52, v88, -v51
	v_mul_f32_e32 v51, v52, v89
	ds_read_b32 v52, v79
	v_mul_f32_e32 v54, v54, v119
	v_fmac_f32_e32 v51, v87, v88
	s_waitcnt vmcnt(0)
	v_mul_f32_e32 v88, v13, v126
	v_fmac_f32_e32 v54, v70, v118
	s_waitcnt lgkmcnt(1)
	v_mul_f32_e32 v70, v69, v126
	v_fmac_f32_e32 v88, v69, v125
	v_add_f32_e32 v69, v84, v64
	v_fma_f32 v87, v13, v125, -v70
	v_add_f32_e32 v13, v50, v84
	v_fmac_f32_e32 v50, -0.5, v69
	v_add_f32_e32 v69, v91, v95
	v_add_f32_e32 v89, v82, v91
	v_fmac_f32_e32 v82, -0.5, v69
	v_add_f32_e32 v97, v83, v92
	v_add_f32_e32 v69, v92, v54
	v_sub_f32_e32 v92, v92, v54
	v_fmac_f32_e32 v83, -0.5, v69
	v_add_f32_e32 v69, v22, v31
	v_mov_b32_e32 v101, v82
	v_fmac_f32_e32 v82, 0xbf5db3d7, v92
	v_sub_f32_e32 v91, v91, v95
	v_fma_f32 v98, -0.5, v69, v49
	v_sub_f32_e32 v99, v85, v63
	v_mov_b32_e32 v102, v83
	v_fmac_f32_e32 v83, 0x3f5db3d7, v91
	v_mul_f32_e32 v69, -0.5, v82
	v_mov_b32_e32 v100, v50
	v_fmac_f32_e32 v50, 0xbf5db3d7, v99
	v_fmac_f32_e32 v69, 0x3f5db3d7, v83
	v_add_f32_e32 v103, v50, v69
	v_sub_f32_e32 v104, v50, v69
	v_add_f32_e32 v50, v41, v25
	v_add_f32_e32 v69, v25, v58
	v_fmac_f32_e32 v41, -0.5, v69
	v_add_f32_e32 v69, v90, v55
	v_add_f32_e32 v106, v50, v58
	v_sub_f32_e32 v58, v25, v58
	v_mov_b32_e32 v25, 2
	v_add_f32_e32 v105, v44, v90
	v_fmac_f32_e32 v44, -0.5, v69
	v_lshlrev_b32_sdwa v14, v25, v14 dst_sel:DWORD dst_unused:UNUSED_PAD src0_sel:DWORD src1_sel:BYTE_0
	v_sub_f32_e32 v90, v90, v55
	v_add3_u32 v120, 0, v12, v14
	v_sub_f32_e32 v14, v30, v65
	v_mov_b32_e32 v107, v98
	v_mov_b32_e32 v108, v41
	;; [unrolled: 1-line block ×3, first 2 shown]
	v_fmac_f32_e32 v41, 0xbf5db3d7, v90
	v_add_f32_e32 v49, v49, v22
	v_fmac_f32_e32 v107, 0x3f5db3d7, v14
	v_fmac_f32_e32 v109, 0xbf5db3d7, v58
	;; [unrolled: 1-line block ×4, first 2 shown]
	v_mul_f32_e32 v14, -0.5, v41
	v_add_f32_e32 v12, v49, v31
	v_fmac_f32_e32 v108, 0x3f5db3d7, v90
	v_mul_f32_e32 v110, 0x3f5db3d7, v109
	v_fmac_f32_e32 v14, 0x3f5db3d7, v44
	v_fmac_f32_e32 v110, 0.5, v108
	v_add_f32_e32 v111, v12, v106
	v_sub_f32_e32 v12, v12, v106
	v_add_f32_e32 v58, v98, v14
	ds_read2_b32 v[49:50], v71 offset1:96
	ds_read2_b32 v[69:70], v73 offset0:64 offset1:160
	s_waitcnt lgkmcnt(0)
	s_barrier
	ds_write2_b32 v120, v58, v12 offset0:20 offset1:30
	v_sub_f32_e32 v12, v107, v110
	v_sub_f32_e32 v14, v98, v14
	ds_write2_b32 v120, v12, v14 offset0:40 offset1:50
	v_fmac_f32_e32 v102, 0xbf5db3d7, v91
	v_lshlrev_b32_sdwa v14, v25, v16 dst_sel:DWORD dst_unused:UNUSED_PAD src0_sel:DWORD src1_sel:BYTE_0
	v_add_f32_e32 v12, v89, v95
	v_fmac_f32_e32 v101, 0x3f5db3d7, v92
	v_add3_u32 v89, 0, v11, v14
	v_add_f32_e32 v11, v13, v64
	v_mul_f32_e32 v13, 0x3f5db3d7, v102
	v_add_f32_e32 v112, v107, v110
	v_fmac_f32_e32 v100, 0x3f5db3d7, v99
	v_fmac_f32_e32 v13, 0.5, v101
	v_add_f32_e32 v14, v11, v12
	v_sub_f32_e32 v11, v11, v12
	ds_write2_b32 v120, v111, v112 offset1:10
	v_add_f32_e32 v16, v100, v13
	ds_write2_b32 v89, v103, v11 offset0:20 offset1:30
	v_sub_f32_e32 v11, v100, v13
	v_add_f32_e32 v12, v39, v59
	v_add_f32_e32 v13, v93, v86
	ds_write2_b32 v89, v11, v104 offset0:40 offset1:50
	v_add_f32_e32 v11, v48, v39
	v_fmac_f32_e32 v48, -0.5, v12
	v_add_f32_e32 v12, v34, v93
	v_fmac_f32_e32 v34, -0.5, v13
	v_add_f32_e32 v13, v94, v51
	v_sub_f32_e32 v58, v94, v51
	v_add_f32_e32 v90, v37, v94
	v_fmac_f32_e32 v37, -0.5, v13
	v_mov_b32_e32 v91, v34
	v_fmac_f32_e32 v34, 0xbf5db3d7, v58
	v_sub_f32_e32 v92, v93, v86
	ds_write2_b32 v89, v14, v16 offset1:10
	v_sub_f32_e32 v14, v40, v56
	v_mov_b32_e32 v93, v37
	v_fmac_f32_e32 v37, 0x3f5db3d7, v92
	v_mul_f32_e32 v94, -0.5, v34
	v_add_f32_e32 v13, v42, v61
	v_mov_b32_e32 v16, v48
	v_fmac_f32_e32 v48, 0xbf5db3d7, v14
	v_fmac_f32_e32 v94, 0x3f5db3d7, v37
	v_add_f32_e32 v98, v68, v96
	v_add_f32_e32 v99, v67, v53
	v_fma_f32 v13, -0.5, v13, v47
	v_add_f32_e32 v95, v48, v94
	v_sub_f32_e32 v48, v48, v94
	v_add_f32_e32 v47, v47, v42
	v_add_f32_e32 v94, v35, v68
	v_fmac_f32_e32 v35, -0.5, v98
	v_add_f32_e32 v98, v38, v67
	v_fmac_f32_e32 v38, -0.5, v99
	v_sub_f32_e32 v67, v67, v53
	v_add_f32_e32 v94, v94, v96
	v_sub_f32_e32 v68, v68, v96
	v_add3_u32 v96, 0, v15, v17
	v_add_f32_e32 v15, v47, v61
	v_sub_f32_e32 v17, v66, v62
	v_mov_b32_e32 v47, v13
	v_mov_b32_e32 v99, v35
	v_mov_b32_e32 v100, v38
	v_fmac_f32_e32 v35, 0xbf5db3d7, v67
	v_fmac_f32_e32 v47, 0x3f5db3d7, v17
	;; [unrolled: 1-line block ×5, first 2 shown]
	v_mul_f32_e32 v17, -0.5, v35
	v_fmac_f32_e32 v99, 0x3f5db3d7, v67
	v_mul_f32_e32 v103, 0x3f5db3d7, v100
	v_fmac_f32_e32 v17, 0x3f5db3d7, v38
	v_fmac_f32_e32 v103, 0.5, v99
	v_add_f32_e32 v104, v15, v94
	v_sub_f32_e32 v15, v15, v94
	v_add_f32_e32 v67, v13, v17
	ds_write2_b32 v96, v67, v15 offset0:20 offset1:30
	v_sub_f32_e32 v15, v47, v103
	v_sub_f32_e32 v13, v13, v17
	ds_write2_b32 v96, v15, v13 offset0:40 offset1:50
	v_fmac_f32_e32 v16, 0x3f5db3d7, v14
	v_fmac_f32_e32 v93, 0xbf5db3d7, v92
	v_mul_u32_u24_e32 v13, 0xf0, v18
	v_lshlrev_b32_e32 v14, 2, v19
	v_add_f32_e32 v106, v47, v103
	v_add_f32_e32 v12, v12, v86
	v_fmac_f32_e32 v91, 0x3f5db3d7, v58
	v_add3_u32 v47, 0, v13, v14
	v_add_f32_e32 v11, v11, v59
	v_mul_f32_e32 v13, 0x3f5db3d7, v93
	v_fmac_f32_e32 v13, 0.5, v91
	v_add_f32_e32 v14, v11, v12
	v_sub_f32_e32 v11, v11, v12
	ds_write2_b32 v96, v104, v106 offset1:10
	v_add_f32_e32 v15, v16, v13
	ds_write2_b32 v47, v95, v11 offset0:20 offset1:30
	v_sub_f32_e32 v11, v16, v13
	v_add_f32_e32 v12, v33, v45
	v_add_f32_e32 v13, v60, v87
	ds_write2_b32 v47, v11, v48 offset0:40 offset1:50
	v_add_f32_e32 v11, v9, v33
	v_fmac_f32_e32 v9, -0.5, v12
	v_add_f32_e32 v12, v10, v60
	v_fmac_f32_e32 v10, -0.5, v13
	v_add_f32_e32 v13, v57, v88
	v_add_f32_e32 v48, v32, v57
	v_fmac_f32_e32 v32, -0.5, v13
	v_sub_f32_e32 v16, v57, v88
	ds_write2_b32 v47, v14, v15 offset1:10
	v_add_f32_e32 v12, v12, v87
	v_sub_f32_e32 v13, v60, v87
	v_mul_u32_u24_e32 v14, 0xf0, v20
	v_lshlrev_b32_e32 v15, 2, v21
	v_add_f32_e32 v11, v11, v45
	v_mov_b32_e32 v67, v10
	v_mov_b32_e32 v68, v32
	v_fmac_f32_e32 v10, 0xbf5db3d7, v16
	v_add3_u32 v60, 0, v14, v15
	v_sub_f32_e32 v14, v36, v46
	v_fmac_f32_e32 v68, 0xbf5db3d7, v13
	v_add_f32_e32 v18, v11, v12
	v_fmac_f32_e32 v32, 0x3f5db3d7, v13
	v_sub_f32_e32 v11, v11, v12
	v_mul_f32_e32 v12, -0.5, v10
	v_mov_b32_e32 v15, v9
	v_fmac_f32_e32 v67, 0x3f5db3d7, v16
	v_mul_f32_e32 v17, 0x3f5db3d7, v68
	v_fmac_f32_e32 v9, 0xbf5db3d7, v14
	v_fmac_f32_e32 v12, 0x3f5db3d7, v32
	;; [unrolled: 1-line block ×3, first 2 shown]
	v_fmac_f32_e32 v17, 0.5, v67
	v_add_f32_e32 v13, v9, v12
	ds_write2_b32 v60, v13, v11 offset0:20 offset1:30
	v_sub_f32_e32 v11, v15, v17
	v_sub_f32_e32 v9, v9, v12
	ds_write2_b32 v60, v11, v9 offset0:40 offset1:50
	v_add_f32_e32 v9, v49, v30
	v_add_f32_e32 v11, v30, v65
	;; [unrolled: 1-line block ×3, first 2 shown]
	v_sub_f32_e32 v65, v22, v31
	v_fma_f32 v49, -0.5, v11, v49
	v_mul_f32_e32 v44, -0.5, v44
	v_add_f32_e32 v55, v105, v55
	v_mul_f32_e32 v86, 0xbf5db3d7, v108
	v_mov_b32_e32 v87, v49
	v_fmac_f32_e32 v49, 0x3f5db3d7, v65
	v_fmac_f32_e32 v44, 0xbf5db3d7, v41
	v_add_f32_e32 v19, v15, v17
	v_fmac_f32_e32 v86, 0.5, v109
	v_fmac_f32_e32 v87, 0xbf5db3d7, v65
	v_add_f32_e32 v92, v9, v55
	v_sub_f32_e32 v9, v9, v55
	v_add_f32_e32 v41, v49, v44
	ds_write2_b32 v60, v18, v19 offset1:10
	s_waitcnt lgkmcnt(0)
	s_barrier
	ds_read_b32 v30, v79
	ds_read_b32 v31, v71 offset:11136
	ds_read2_b32 v[13:14], v71 offset1:96
	ds_read2_b32 v[57:58], v43 offset0:96 offset1:192
	ds_read2_b32 v[106:107], v80 offset0:96 offset1:192
	;; [unrolled: 1-line block ×13, first 2 shown]
	s_waitcnt lgkmcnt(0)
	s_barrier
	ds_write2_b32 v120, v41, v9 offset0:20 offset1:30
	v_sub_f32_e32 v9, v87, v86
	v_sub_f32_e32 v41, v49, v44
	ds_write2_b32 v120, v9, v41 offset0:40 offset1:50
	v_add_f32_e32 v41, v85, v63
	v_add_f32_e32 v9, v50, v85
	v_fmac_f32_e32 v50, -0.5, v41
	v_sub_f32_e32 v41, v84, v64
	v_mul_f32_e32 v44, -0.5, v83
	v_fmac_f32_e32 v44, 0xbf5db3d7, v82
	v_mov_b32_e32 v49, v50
	v_fmac_f32_e32 v50, 0x3f5db3d7, v41
	v_add_f32_e32 v55, v50, v44
	v_sub_f32_e32 v44, v50, v44
	v_add_f32_e32 v9, v9, v63
	v_fmac_f32_e32 v49, 0xbf5db3d7, v41
	v_add_f32_e32 v41, v97, v54
	v_mul_f32_e32 v50, 0xbf5db3d7, v101
	v_add_f32_e32 v94, v87, v86
	v_fmac_f32_e32 v50, 0.5, v102
	v_add_f32_e32 v54, v9, v41
	v_sub_f32_e32 v9, v9, v41
	ds_write2_b32 v120, v92, v94 offset1:10
	ds_write2_b32 v89, v55, v9 offset0:20 offset1:30
	v_sub_f32_e32 v9, v49, v50
	v_add_f32_e32 v41, v66, v62
	ds_write2_b32 v89, v9, v44 offset0:40 offset1:50
	v_add_f32_e32 v9, v69, v66
	v_sub_f32_e32 v42, v42, v61
	v_fma_f32 v41, -0.5, v41, v69
	v_mul_f32_e32 v38, -0.5, v38
	v_add_f32_e32 v63, v49, v50
	v_add_f32_e32 v9, v9, v62
	;; [unrolled: 1-line block ×3, first 2 shown]
	v_mul_f32_e32 v49, 0xbf5db3d7, v99
	v_mov_b32_e32 v50, v41
	v_fmac_f32_e32 v41, 0x3f5db3d7, v42
	v_fmac_f32_e32 v38, 0xbf5db3d7, v35
	v_fmac_f32_e32 v49, 0.5, v100
	v_fmac_f32_e32 v50, 0xbf5db3d7, v42
	v_add_f32_e32 v53, v9, v44
	v_sub_f32_e32 v9, v9, v44
	v_add_f32_e32 v35, v41, v38
	ds_write2_b32 v89, v54, v63 offset1:10
	ds_write2_b32 v96, v35, v9 offset0:20 offset1:30
	v_sub_f32_e32 v9, v50, v49
	v_sub_f32_e32 v35, v41, v38
	ds_write2_b32 v96, v9, v35 offset0:40 offset1:50
	v_add_f32_e32 v35, v40, v56
	v_add_f32_e32 v9, v70, v40
	v_fmac_f32_e32 v70, -0.5, v35
	v_mul_f32_e32 v37, -0.5, v37
	v_sub_f32_e32 v35, v39, v59
	v_fmac_f32_e32 v37, 0xbf5db3d7, v34
	v_mov_b32_e32 v34, v70
	v_mul_f32_e32 v39, 0xbf5db3d7, v91
	v_fmac_f32_e32 v70, 0x3f5db3d7, v35
	v_add_f32_e32 v9, v9, v56
	v_fmac_f32_e32 v34, 0xbf5db3d7, v35
	v_add_f32_e32 v35, v90, v51
	v_fmac_f32_e32 v39, 0.5, v93
	v_add_f32_e32 v40, v9, v35
	v_sub_f32_e32 v9, v9, v35
	v_add_f32_e32 v35, v34, v39
	v_sub_f32_e32 v34, v34, v39
	v_add_f32_e32 v39, v52, v36
	v_add_f32_e32 v36, v36, v46
	v_fmac_f32_e32 v52, -0.5, v36
	v_sub_f32_e32 v33, v33, v45
	v_mov_b32_e32 v36, v52
	v_mul_f32_e32 v41, 0xbf5db3d7, v67
	v_mul_f32_e32 v32, -0.5, v32
	v_add_f32_e32 v54, v50, v49
	v_add_f32_e32 v39, v39, v46
	v_fmac_f32_e32 v36, 0xbf5db3d7, v33
	v_fmac_f32_e32 v52, 0x3f5db3d7, v33
	v_add_f32_e32 v33, v48, v88
	v_fmac_f32_e32 v41, 0.5, v68
	v_fmac_f32_e32 v32, 0xbf5db3d7, v10
	ds_write2_b32 v96, v53, v54 offset1:10
	v_add_f32_e32 v38, v70, v37
	v_sub_f32_e32 v37, v70, v37
	v_add_f32_e32 v10, v39, v33
	v_sub_f32_e32 v33, v39, v33
	;; [unrolled: 2-line block ×4, first 2 shown]
	ds_write2_b32 v47, v40, v35 offset1:10
	ds_write2_b32 v47, v38, v9 offset0:20 offset1:30
	ds_write2_b32 v47, v34, v37 offset0:40 offset1:50
	ds_write2_b32 v60, v10, v39 offset1:10
	ds_write2_b32 v60, v41, v33 offset0:20 offset1:30
	ds_write2_b32 v60, v36, v32 offset0:40 offset1:50
	v_subrev_u32_e32 v9, 60, v0
	v_cndmask_b32_e64 v33, v9, v0, s[0:1]
	v_mul_i32_i24_e32 v9, 5, v33
	v_mov_b32_e32 v10, 0
	v_lshlrev_b64 v[34:35], 3, v[9:10]
	v_mov_b32_e32 v42, s9
	v_add_co_u32_e64 v55, s[0:1], s8, v34
	v_addc_co_u32_e64 v56, s[0:1], v42, v35, s[0:1]
	s_movk_i32 s0, 0x89
	v_mul_lo_u16_sdwa v9, v28, s0 dst_sel:DWORD dst_unused:UNUSED_PAD src0_sel:BYTE_0 src1_sel:DWORD
	v_lshrrev_b16_e32 v36, 13, v9
	v_mul_lo_u16_e32 v9, 60, v36
	s_waitcnt lgkmcnt(0)
	s_barrier
	global_load_dwordx4 v[44:47], v[55:56], off offset:400
	v_sub_u16_e32 v37, v28, v9
	s_mov_b32 s0, 0x8889
	v_mul_u32_u24_sdwa v9, v37, v24 dst_sel:DWORD dst_unused:UNUSED_PAD src0_sel:BYTE_0 src1_sel:DWORD
	v_mul_u32_u24_sdwa v24, v26, s0 dst_sel:DWORD dst_unused:UNUSED_PAD src0_sel:WORD_0 src1_sel:DWORD
	v_lshrrev_b32_e32 v28, 21, v24
	v_mul_lo_u16_e32 v24, 60, v28
	v_lshlrev_b32_e32 v9, 3, v9
	v_sub_u16_e32 v32, v26, v24
	global_load_dwordx4 v[51:54], v9, s[8:9] offset:400
	v_mul_u32_u24_e32 v24, 5, v32
	v_lshlrev_b32_e32 v24, 3, v24
	global_load_dwordx4 v[62:65], v24, s[8:9] offset:400
	v_mul_u32_u24_sdwa v26, v23, s0 dst_sel:DWORD dst_unused:UNUSED_PAD src0_sel:WORD_0 src1_sel:DWORD
	v_lshrrev_b32_e32 v34, 21, v26
	v_mul_lo_u16_e32 v26, 60, v34
	v_sub_u16_e32 v35, v23, v26
	v_mul_u32_u24_e32 v26, 5, v35
	v_mul_u32_u24_sdwa v38, v7, s0 dst_sel:DWORD dst_unused:UNUSED_PAD src0_sel:WORD_0 src1_sel:DWORD
	v_lshlrev_b32_e32 v26, 3, v26
	v_lshrrev_b32_e32 v38, 21, v38
	global_load_dwordx4 v[66:69], v26, s[8:9] offset:400
	v_mul_lo_u16_e32 v39, 60, v38
	v_sub_u16_e32 v39, v7, v39
	v_mul_u32_u24_e32 v40, 5, v39
	v_lshlrev_b32_e32 v70, 3, v40
	global_load_dwordx4 v[82:85], v70, s[8:9] offset:400
	global_load_dwordx4 v[86:89], v[55:56], off offset:416
	global_load_dwordx4 v[90:93], v9, s[8:9] offset:416
	global_load_dwordx4 v[94:97], v24, s[8:9] offset:416
	ds_read2_b32 v[59:60], v43 offset0:96 offset1:192
	global_load_dwordx4 v[98:101], v26, s[8:9] offset:416
	global_load_dwordx2 v[125:126], v26, s[8:9] offset:432
	global_load_dwordx4 v[102:105], v70, s[8:9] offset:416
	global_load_dwordx2 v[127:128], v70, s[8:9] offset:432
	ds_read2_b32 v[120:121], v80 offset0:96 offset1:192
	global_load_dwordx2 v[123:124], v9, s[8:9] offset:432
	v_cmp_lt_u32_e64 s[0:1], 59, v0
	v_lshlrev_b32_e32 v33, 2, v33
	v_lshlrev_b32_sdwa v25, v25, v37 dst_sel:DWORD dst_unused:UNUSED_PAD src0_sel:DWORD src1_sel:BYTE_0
	v_mul_u32_u24_e32 v28, 0x5a0, v28
	v_lshlrev_b32_e32 v32, 2, v32
	v_lshlrev_b64 v[7:8], 3, v[7:8]
	s_waitcnt vmcnt(12) lgkmcnt(1)
	v_mul_f32_e32 v40, v59, v45
	v_mul_f32_e32 v49, v57, v45
	v_fma_f32 v48, v57, v44, -v40
	v_fmac_f32_e32 v49, v59, v44
	ds_read2_b32 v[44:45], v29 offset0:32 offset1:128
	v_mul_f32_e32 v41, v107, v47
	s_waitcnt lgkmcnt(1)
	v_mul_f32_e32 v40, v121, v47
	v_fmac_f32_e32 v41, v121, v46
	global_load_dwordx2 v[121:122], v[55:56], off offset:432
	s_waitcnt vmcnt(12)
	v_mul_f32_e32 v29, v60, v52
	v_fma_f32 v50, v58, v51, -v29
	v_mul_f32_e32 v55, v58, v52
	s_waitcnt lgkmcnt(0)
	v_mul_f32_e32 v29, v44, v54
	v_fmac_f32_e32 v55, v60, v51
	v_fma_f32 v60, v110, v53, -v29
	s_waitcnt vmcnt(11)
	v_mul_f32_e32 v29, v45, v65
	v_mul_f32_e32 v61, v110, v54
	v_fma_f32 v57, v111, v64, -v29
	v_mul_f32_e32 v58, v111, v65
	global_load_dwordx2 v[110:111], v24, s[8:9] offset:432
	v_fma_f32 v40, v107, v46, -v40
	ds_read2_b32 v[46:47], v81 offset0:32 offset1:128
	ds_read2_b32 v[51:52], v27 offset0:96 offset1:192
	v_fmac_f32_e32 v61, v44, v53
	ds_read2_b32 v[53:54], v72 offset0:32 offset1:128
	s_waitcnt vmcnt(11)
	v_mul_f32_e32 v44, v115, v67
	s_waitcnt lgkmcnt(2)
	v_mul_f32_e32 v9, v46, v63
	v_fma_f32 v56, v114, v62, -v9
	v_mul_f32_e32 v9, v47, v67
	v_fma_f32 v26, v115, v66, -v9
	v_fmac_f32_e32 v44, v47, v66
	s_waitcnt lgkmcnt(1)
	v_mul_f32_e32 v9, v51, v69
	v_mul_f32_e32 v47, v118, v69
	ds_read2_b32 v[69:70], v75 offset0:32 offset1:128
	v_fmac_f32_e32 v58, v45, v64
	s_waitcnt vmcnt(10)
	v_mul_f32_e32 v45, v119, v85
	s_waitcnt vmcnt(9) lgkmcnt(1)
	v_mul_f32_e32 v29, v53, v87
	v_mul_f32_e32 v87, v108, v87
	;; [unrolled: 1-line block ×4, first 2 shown]
	v_fmac_f32_e32 v45, v52, v84
	v_fmac_f32_e32 v87, v53, v86
	ds_read2_b32 v[52:53], v76 offset0:96 offset1:192
	v_fmac_f32_e32 v59, v46, v62
	v_fma_f32 v46, v118, v68, -v9
	v_mul_f32_e32 v9, v120, v83
	v_mul_f32_e32 v24, v106, v83
	v_fma_f32 v9, v106, v82, -v9
	v_fmac_f32_e32 v24, v120, v82
	ds_read2_b32 v[82:83], v74 offset0:96 offset1:192
	v_fma_f32 v106, v108, v86, -v29
	s_waitcnt lgkmcnt(2)
	v_mul_f32_e32 v29, v70, v89
	v_fmac_f32_e32 v47, v51, v68
	v_fma_f32 v27, v119, v84, -v27
	v_fma_f32 v29, v20, v88, -v29
	v_mul_f32_e32 v51, v20, v89
	s_waitcnt vmcnt(8)
	v_mul_f32_e32 v20, v54, v91
	ds_read2_b32 v[84:85], v77 offset0:32 offset1:128
	v_fma_f32 v86, v109, v90, -v20
	s_waitcnt lgkmcnt(2)
	v_mul_f32_e32 v20, v52, v93
	v_fma_f32 v65, v112, v92, -v20
	s_waitcnt vmcnt(7)
	v_mul_f32_e32 v20, v53, v97
	v_fma_f32 v63, v113, v96, -v20
	s_waitcnt lgkmcnt(1)
	v_mul_f32_e32 v20, v82, v95
	v_mul_f32_e32 v64, v113, v97
	v_fma_f32 v68, v116, v94, -v20
	s_waitcnt vmcnt(6)
	v_mul_f32_e32 v20, v83, v99
	v_fmac_f32_e32 v64, v53, v96
	v_fma_f32 v89, v117, v98, -v20
	s_waitcnt lgkmcnt(0)
	v_mul_f32_e32 v20, v84, v101
	s_waitcnt vmcnt(4)
	v_mul_f32_e32 v53, v19, v103
	v_fmac_f32_e32 v51, v70, v88
	v_mul_f32_e32 v88, v109, v91
	v_fma_f32 v62, v21, v100, -v20
	v_mul_f32_e32 v20, v69, v103
	v_fmac_f32_e32 v53, v69, v102
	ds_read2_b32 v[69:70], v78 offset0:96 offset1:192
	v_fmac_f32_e32 v88, v54, v90
	v_mul_f32_e32 v66, v116, v95
	v_mul_f32_e32 v90, v117, v99
	v_fmac_f32_e32 v66, v82, v94
	v_fmac_f32_e32 v90, v83, v98
	ds_read2_b32 v[82:83], v5 offset0:32 offset1:128
	v_fma_f32 v54, v19, v102, -v20
	v_mul_f32_e32 v19, v85, v105
	v_mul_f32_e32 v67, v112, v93
	;; [unrolled: 1-line block ×3, first 2 shown]
	v_fma_f32 v19, v22, v104, -v19
	v_mul_f32_e32 v20, v22, v105
	s_waitcnt vmcnt(1) lgkmcnt(1)
	v_mul_f32_e32 v22, v69, v122
	v_fmac_f32_e32 v67, v52, v92
	v_fmac_f32_e32 v21, v84, v100
	v_fma_f32 v84, v17, v121, -v22
	v_mul_f32_e32 v52, v17, v122
	v_mul_f32_e32 v17, v70, v124
	v_fmac_f32_e32 v52, v69, v121
	v_fma_f32 v69, v18, v123, -v17
	v_mul_f32_e32 v22, v18, v124
	v_fmac_f32_e32 v22, v70, v123
	s_waitcnt vmcnt(0) lgkmcnt(0)
	v_mul_f32_e32 v17, v82, v111
	v_fma_f32 v70, v15, v110, -v17
	v_mul_f32_e32 v17, v15, v111
	v_fmac_f32_e32 v17, v82, v110
	ds_read_b32 v82, v71 offset:11136
	ds_read_b32 v96, v79
	v_mul_f32_e32 v15, v83, v126
	v_mul_f32_e32 v97, v31, v128
	v_fma_f32 v18, v16, v125, -v15
	v_mul_f32_e32 v15, v16, v126
	s_waitcnt lgkmcnt(1)
	v_mul_f32_e32 v16, v82, v128
	v_fmac_f32_e32 v97, v82, v127
	v_add_f32_e32 v82, v60, v65
	v_fma_f32 v16, v31, v127, -v16
	v_add_f32_e32 v31, v14, v60
	v_fmac_f32_e32 v14, -0.5, v82
	v_add_f32_e32 v82, v86, v69
	v_add_f32_e32 v91, v50, v86
	v_fmac_f32_e32 v50, -0.5, v82
	v_add_f32_e32 v98, v55, v88
	v_add_f32_e32 v82, v88, v22
	v_sub_f32_e32 v88, v88, v22
	v_fmac_f32_e32 v55, -0.5, v82
	v_add_f32_e32 v82, v40, v29
	v_mov_b32_e32 v99, v50
	v_fmac_f32_e32 v50, 0xbf5db3d7, v88
	v_sub_f32_e32 v86, v86, v69
	v_fma_f32 v92, -0.5, v82, v13
	v_sub_f32_e32 v93, v61, v67
	v_mov_b32_e32 v100, v55
	v_fmac_f32_e32 v55, 0x3f5db3d7, v86
	v_mul_f32_e32 v82, -0.5, v50
	v_mov_b32_e32 v94, v14
	v_fmac_f32_e32 v14, 0xbf5db3d7, v93
	v_fmac_f32_e32 v82, 0x3f5db3d7, v55
	;; [unrolled: 1-line block ×3, first 2 shown]
	v_add_f32_e32 v95, v14, v82
	v_sub_f32_e32 v14, v14, v82
	v_add_f32_e32 v82, v48, v106
	v_add_f32_e32 v83, v106, v84
	v_fmac_f32_e32 v48, -0.5, v83
	v_add_f32_e32 v83, v87, v52
	v_add_f32_e32 v102, v82, v84
	v_mov_b32_e32 v82, 0x5a0
	v_add_f32_e32 v101, v49, v87
	v_fmac_f32_e32 v49, -0.5, v83
	v_cndmask_b32_e64 v82, 0, v82, s[0:1]
	v_sub_f32_e32 v87, v87, v52
	v_fmac_f32_e32 v20, v85, v104
	v_sub_f32_e32 v103, v106, v84
	v_add3_u32 v104, 0, v82, v33
	v_sub_f32_e32 v33, v41, v51
	v_mov_b32_e32 v105, v92
	v_mov_b32_e32 v106, v48
	;; [unrolled: 1-line block ×3, first 2 shown]
	v_fmac_f32_e32 v48, 0xbf5db3d7, v87
	v_add_f32_e32 v13, v13, v40
	v_fmac_f32_e32 v105, 0x3f5db3d7, v33
	v_fmac_f32_e32 v107, 0xbf5db3d7, v103
	;; [unrolled: 1-line block ×4, first 2 shown]
	v_mul_f32_e32 v33, -0.5, v48
	v_add_f32_e32 v13, v13, v29
	v_fmac_f32_e32 v106, 0x3f5db3d7, v87
	v_mul_f32_e32 v108, 0x3f5db3d7, v107
	v_fmac_f32_e32 v33, 0x3f5db3d7, v49
	v_fmac_f32_e32 v108, 0.5, v106
	v_add_f32_e32 v109, v13, v102
	v_sub_f32_e32 v13, v13, v102
	v_add_f32_e32 v87, v92, v33
	ds_read2_b32 v[82:83], v71 offset1:96
	ds_read2_b32 v[84:85], v73 offset0:64 offset1:160
	s_waitcnt lgkmcnt(0)
	s_barrier
	ds_write2_b32 v104, v87, v13 offset0:120 offset1:180
	v_sub_f32_e32 v13, v105, v108
	v_sub_f32_e32 v33, v92, v33
	v_add_u32_e32 v102, 0x200, v104
	ds_write2_b32 v102, v13, v33 offset0:112 offset1:172
	v_fmac_f32_e32 v100, 0xbf5db3d7, v86
	v_mul_u32_u24_e32 v33, 0x5a0, v36
	v_add_f32_e32 v13, v91, v69
	v_fmac_f32_e32 v99, 0x3f5db3d7, v88
	v_add3_u32 v25, 0, v33, v25
	v_add_f32_e32 v31, v31, v65
	v_mul_f32_e32 v33, 0x3f5db3d7, v100
	v_add_f32_e32 v110, v105, v108
	v_fmac_f32_e32 v94, 0x3f5db3d7, v93
	v_fmac_f32_e32 v33, 0.5, v99
	v_add_f32_e32 v36, v31, v13
	v_sub_f32_e32 v13, v31, v13
	ds_write2_b32 v104, v109, v110 offset1:60
	ds_write2_b32 v25, v95, v13 offset0:120 offset1:180
	v_sub_f32_e32 v13, v94, v33
	v_add_u32_e32 v103, 0x200, v25
	v_add_f32_e32 v37, v94, v33
	ds_write2_b32 v103, v13, v14 offset0:112 offset1:172
	v_add_f32_e32 v14, v46, v62
	v_add_f32_e32 v31, v89, v18
	ds_write2_b32 v25, v36, v37 offset1:60
	v_add_f32_e32 v13, v12, v46
	v_fmac_f32_e32 v12, -0.5, v14
	v_add_f32_e32 v14, v26, v89
	v_fmac_f32_e32 v26, -0.5, v31
	v_add_f32_e32 v31, v90, v15
	v_sub_f32_e32 v37, v90, v15
	v_add_f32_e32 v105, v44, v90
	v_fmac_f32_e32 v44, -0.5, v31
	v_mov_b32_e32 v108, v26
	v_fmac_f32_e32 v26, 0xbf5db3d7, v37
	v_sub_f32_e32 v69, v89, v18
	v_sub_f32_e32 v33, v47, v21
	v_mov_b32_e32 v109, v44
	v_fmac_f32_e32 v44, 0x3f5db3d7, v69
	v_mul_f32_e32 v86, -0.5, v26
	v_mov_b32_e32 v36, v12
	v_fmac_f32_e32 v12, 0xbf5db3d7, v33
	v_fmac_f32_e32 v86, 0x3f5db3d7, v44
	v_add_f32_e32 v88, v68, v70
	v_add_f32_e32 v31, v57, v63
	;; [unrolled: 1-line block ×3, first 2 shown]
	v_sub_f32_e32 v12, v12, v86
	v_add_f32_e32 v86, v56, v68
	v_fmac_f32_e32 v56, -0.5, v88
	v_add_f32_e32 v88, v66, v17
	v_fma_f32 v31, -0.5, v31, v11
	v_add_f32_e32 v110, v59, v66
	v_fmac_f32_e32 v59, -0.5, v88
	v_sub_f32_e32 v66, v66, v17
	v_sub_f32_e32 v68, v68, v70
	v_add3_u32 v111, 0, v28, v32
	v_sub_f32_e32 v28, v58, v64
	v_mov_b32_e32 v32, v31
	v_mov_b32_e32 v112, v56
	;; [unrolled: 1-line block ×3, first 2 shown]
	v_fmac_f32_e32 v56, 0xbf5db3d7, v66
	v_add_f32_e32 v11, v11, v57
	v_fmac_f32_e32 v32, 0x3f5db3d7, v28
	v_fmac_f32_e32 v113, 0xbf5db3d7, v68
	;; [unrolled: 1-line block ×4, first 2 shown]
	v_mul_f32_e32 v28, -0.5, v56
	v_add_f32_e32 v86, v86, v70
	v_add_f32_e32 v11, v11, v63
	v_fmac_f32_e32 v112, 0x3f5db3d7, v66
	v_mul_f32_e32 v70, 0x3f5db3d7, v113
	v_fmac_f32_e32 v28, 0x3f5db3d7, v59
	v_fmac_f32_e32 v70, 0.5, v112
	v_add_f32_e32 v88, v11, v86
	v_sub_f32_e32 v11, v11, v86
	v_add_f32_e32 v66, v31, v28
	ds_write2_b32 v111, v66, v11 offset0:120 offset1:180
	v_sub_f32_e32 v11, v32, v70
	v_sub_f32_e32 v28, v31, v28
	v_add_u32_e32 v114, 0x200, v111
	ds_write2_b32 v114, v11, v28 offset0:112 offset1:172
	v_add_f32_e32 v11, v14, v18
	v_fmac_f32_e32 v109, 0xbf5db3d7, v69
	v_mul_u32_u24_e32 v14, 0x5a0, v34
	v_lshlrev_b32_e32 v18, 2, v35
	v_fmac_f32_e32 v108, 0x3f5db3d7, v37
	v_add3_u32 v115, 0, v14, v18
	v_add_f32_e32 v13, v13, v62
	v_mul_f32_e32 v14, 0x3f5db3d7, v109
	v_add_f32_e32 v89, v32, v70
	v_fmac_f32_e32 v36, 0x3f5db3d7, v33
	v_fmac_f32_e32 v14, 0.5, v108
	v_add_f32_e32 v18, v13, v11
	v_sub_f32_e32 v11, v13, v11
	ds_write2_b32 v111, v88, v89 offset1:60
	ds_write2_b32 v115, v87, v11 offset0:120 offset1:180
	v_sub_f32_e32 v11, v36, v14
	v_add_u32_e32 v13, 0x200, v115
	v_add_f32_e32 v28, v36, v14
	ds_write2_b32 v13, v11, v12 offset0:112 offset1:172
	v_add_f32_e32 v12, v27, v19
	v_add_f32_e32 v14, v54, v16
	;; [unrolled: 1-line block ×3, first 2 shown]
	v_fmac_f32_e32 v30, -0.5, v12
	v_add_f32_e32 v12, v9, v54
	v_fmac_f32_e32 v9, -0.5, v14
	v_add_f32_e32 v14, v53, v97
	ds_write2_b32 v115, v18, v28 offset1:60
	v_add_f32_e32 v116, v24, v53
	v_fmac_f32_e32 v24, -0.5, v14
	v_sub_f32_e32 v28, v53, v97
	v_add_f32_e32 v12, v12, v16
	v_sub_f32_e32 v14, v54, v16
	v_mul_u32_u24_e32 v16, 0x5a0, v38
	v_lshlrev_b32_e32 v18, 2, v39
	v_add_f32_e32 v11, v11, v19
	v_mov_b32_e32 v118, v9
	v_mov_b32_e32 v119, v24
	v_fmac_f32_e32 v9, 0xbf5db3d7, v28
	v_add3_u32 v117, 0, v16, v18
	v_sub_f32_e32 v16, v45, v20
	v_fmac_f32_e32 v119, 0xbf5db3d7, v14
	v_add_f32_e32 v32, v11, v12
	v_fmac_f32_e32 v24, 0x3f5db3d7, v14
	v_sub_f32_e32 v11, v11, v12
	v_mul_f32_e32 v12, -0.5, v9
	v_mov_b32_e32 v18, v30
	v_fmac_f32_e32 v118, 0x3f5db3d7, v28
	v_mul_f32_e32 v31, 0x3f5db3d7, v119
	v_fmac_f32_e32 v30, 0xbf5db3d7, v16
	v_fmac_f32_e32 v12, 0x3f5db3d7, v24
	;; [unrolled: 1-line block ×3, first 2 shown]
	v_fmac_f32_e32 v31, 0.5, v118
	v_add_f32_e32 v14, v30, v12
	ds_write2_b32 v117, v14, v11 offset0:120 offset1:180
	v_sub_f32_e32 v11, v18, v31
	v_sub_f32_e32 v12, v30, v12
	v_add_u32_e32 v120, 0x200, v117
	ds_write2_b32 v120, v11, v12 offset0:112 offset1:172
	v_add_f32_e32 v12, v41, v51
	v_add_f32_e32 v11, v82, v41
	v_sub_f32_e32 v121, v40, v29
	v_mul_f32_e32 v106, 0xbf5db3d7, v106
	v_fma_f32 v12, -0.5, v12, v82
	v_mul_f32_e32 v49, -0.5, v49
	v_add_f32_e32 v11, v11, v51
	v_add_f32_e32 v101, v101, v52
	v_fmac_f32_e32 v106, 0.5, v107
	v_mov_b32_e32 v107, v12
	v_fmac_f32_e32 v12, 0x3f5db3d7, v121
	v_fmac_f32_e32 v49, 0xbf5db3d7, v48
	v_add_f32_e32 v33, v18, v31
	v_fmac_f32_e32 v107, 0xbf5db3d7, v121
	v_lshl_add_u32 v16, v0, 2, 0
	v_lshl_add_u32 v14, v6, 2, 0
	;; [unrolled: 1-line block ×3, first 2 shown]
	v_add_f32_e32 v122, v11, v101
	v_sub_f32_e32 v11, v11, v101
	v_add_f32_e32 v48, v12, v49
	ds_write2_b32 v117, v32, v33 offset1:60
	s_waitcnt lgkmcnt(0)
	s_barrier
	v_add_u32_e32 v51, 0x800, v16
	v_add_u32_e32 v52, 0x80, v16
	ds_read_b32 v69, v71 offset:1920
	ds_read_b32 v66, v71 offset:3840
	ds_read_b32 v18, v53
	v_add_u32_e32 v54, 0x1200, v16
	ds_read_b32 v68, v14
	ds_read_b32 v70, v79
	ds_read_b32 v82, v71 offset:11136
	ds_read2_b32 v[36:37], v71 offset1:96
	ds_read2_b32 v[86:87], v72 offset0:32 offset1:128
	ds_read2_b32 v[34:35], v73 offset0:64 offset1:160
	;; [unrolled: 1-line block ×7, first 2 shown]
	ds_read2st64_b32 v[30:31], v52 offset0:13 offset1:16
	ds_read2_b32 v[40:41], v78 offset0:96 offset1:192
	ds_read2_b32 v[38:39], v5 offset0:32 offset1:128
	;; [unrolled: 1-line block ×3, first 2 shown]
	s_waitcnt lgkmcnt(0)
	s_barrier
	ds_write2_b32 v104, v48, v11 offset0:120 offset1:180
	v_sub_f32_e32 v11, v107, v106
	v_sub_f32_e32 v12, v12, v49
	ds_write2_b32 v102, v11, v12 offset0:112 offset1:172
	v_add_f32_e32 v12, v61, v67
	v_add_f32_e32 v11, v83, v61
	v_fmac_f32_e32 v83, -0.5, v12
	v_sub_f32_e32 v12, v60, v65
	v_mov_b32_e32 v49, v83
	v_fmac_f32_e32 v49, 0xbf5db3d7, v12
	v_fmac_f32_e32 v83, 0x3f5db3d7, v12
	v_mul_f32_e32 v12, -0.5, v55
	v_add_f32_e32 v11, v11, v67
	v_add_f32_e32 v22, v98, v22
	v_mul_f32_e32 v48, 0xbf5db3d7, v99
	v_fmac_f32_e32 v12, 0xbf5db3d7, v50
	v_add_f32_e32 v123, v107, v106
	v_fmac_f32_e32 v48, 0.5, v100
	v_add_f32_e32 v60, v11, v22
	v_sub_f32_e32 v11, v11, v22
	v_add_f32_e32 v22, v83, v12
	ds_write2_b32 v104, v122, v123 offset1:60
	ds_write2_b32 v25, v22, v11 offset0:120 offset1:180
	v_sub_f32_e32 v11, v83, v12
	v_sub_f32_e32 v12, v49, v48
	ds_write2_b32 v103, v12, v11 offset0:112 offset1:172
	v_add_f32_e32 v12, v58, v64
	v_fma_f32 v12, -0.5, v12, v84
	v_add_f32_e32 v61, v49, v48
	v_sub_f32_e32 v22, v57, v63
	v_mov_b32_e32 v48, v12
	v_add_f32_e32 v11, v84, v58
	v_fmac_f32_e32 v48, 0xbf5db3d7, v22
	v_fmac_f32_e32 v12, 0x3f5db3d7, v22
	v_mul_f32_e32 v22, -0.5, v59
	ds_write2_b32 v25, v60, v61 offset1:60
	v_add_f32_e32 v11, v11, v64
	v_add_f32_e32 v17, v110, v17
	v_mul_f32_e32 v25, 0xbf5db3d7, v112
	v_fmac_f32_e32 v22, 0xbf5db3d7, v56
	v_fmac_f32_e32 v25, 0.5, v113
	v_add_f32_e32 v49, v11, v17
	v_sub_f32_e32 v11, v11, v17
	v_add_f32_e32 v17, v12, v22
	ds_write2_b32 v111, v17, v11 offset0:120 offset1:180
	v_sub_f32_e32 v11, v48, v25
	v_sub_f32_e32 v12, v12, v22
	ds_write2_b32 v114, v11, v12 offset0:112 offset1:172
	v_add_f32_e32 v12, v47, v21
	v_add_f32_e32 v11, v85, v47
	v_fmac_f32_e32 v85, -0.5, v12
	v_sub_f32_e32 v12, v46, v62
	v_add_f32_e32 v11, v11, v21
	v_mul_f32_e32 v17, 0xbf5db3d7, v108
	v_mov_b32_e32 v21, v85
	v_add_f32_e32 v15, v105, v15
	v_fmac_f32_e32 v17, 0.5, v109
	v_fmac_f32_e32 v21, 0xbf5db3d7, v12
	v_add_f32_e32 v50, v48, v25
	v_add_f32_e32 v22, v11, v15
	v_add_f32_e32 v25, v21, v17
	ds_write2_b32 v111, v49, v50 offset1:60
	ds_write2_b32 v115, v22, v25 offset1:60
	v_mul_f32_e32 v22, -0.5, v44
	v_fmac_f32_e32 v22, 0xbf5db3d7, v26
	v_fmac_f32_e32 v85, 0x3f5db3d7, v12
	v_sub_f32_e32 v11, v11, v15
	v_add_f32_e32 v12, v85, v22
	ds_write2_b32 v115, v12, v11 offset0:120 offset1:180
	v_sub_f32_e32 v12, v21, v17
	v_add_f32_e32 v17, v45, v20
	v_add_f32_e32 v15, v96, v45
	v_fmac_f32_e32 v96, -0.5, v17
	v_add_f32_e32 v15, v15, v20
	v_sub_f32_e32 v17, v27, v19
	v_mov_b32_e32 v19, v96
	v_mul_f32_e32 v20, 0xbf5db3d7, v118
	v_mul_f32_e32 v21, -0.5, v24
	v_sub_f32_e32 v11, v85, v22
	v_fmac_f32_e32 v19, 0xbf5db3d7, v17
	v_fmac_f32_e32 v96, 0x3f5db3d7, v17
	v_add_f32_e32 v17, v116, v97
	v_fmac_f32_e32 v20, 0.5, v119
	v_fmac_f32_e32 v21, 0xbf5db3d7, v9
	v_add_f32_e32 v9, v15, v17
	v_sub_f32_e32 v15, v15, v17
	v_add_f32_e32 v17, v19, v20
	v_sub_f32_e32 v19, v19, v20
	;; [unrolled: 2-line block ×3, first 2 shown]
	ds_write2_b32 v13, v12, v11 offset0:112 offset1:172
	ds_write2_b32 v117, v9, v17 offset1:60
	ds_write2_b32 v117, v20, v15 offset0:120 offset1:180
	ds_write2_b32 v120, v19, v21 offset0:112 offset1:172
	v_lshlrev_b64 v[11:12], 3, v[0:1]
	v_add_u32_e32 v1, 0xffffffb8, v0
	v_add_co_u32_e64 v21, s[0:1], s8, v11
	v_addc_co_u32_e64 v22, s[0:1], v42, v12, s[0:1]
	s_movk_i32 s0, 0x600
	v_add_co_u32_e64 v19, s[0:1], s0, v21
	v_addc_co_u32_e64 v20, s[0:1], 0, v22, s[0:1]
	s_movk_i32 s0, 0x48
	v_cmp_gt_u32_e64 s[0:1], s0, v0
	v_cndmask_b32_e64 v9, v1, v23, s[0:1]
	v_lshlrev_b64 v[23:24], 3, v[9:10]
	s_waitcnt lgkmcnt(0)
	s_barrier
	global_load_dwordx2 v[44:45], v[21:22], off offset:2800
	v_add_co_u32_e64 v46, s[0:1], s8, v23
	v_addc_co_u32_e64 v47, s[0:1], v42, v24, s[0:1]
	v_add_co_u32_e64 v26, s[0:1], s6, v21
	global_load_dwordx2 v[48:49], v[21:22], off offset:3760
	global_load_dwordx2 v[55:56], v[21:22], off offset:3568
	;; [unrolled: 1-line block ×3, first 2 shown]
	v_addc_co_u32_e64 v27, s[0:1], 0, v22, s[0:1]
	s_movk_i32 s0, 0x2d83
	v_add_u32_e32 v23, 0x2a0, v0
	v_mul_u32_u24_sdwa v1, v23, s0 dst_sel:DWORD dst_unused:UNUSED_PAD src0_sel:WORD_0 src1_sel:DWORD
	v_lshrrev_b32_e32 v1, 22, v1
	v_mul_lo_u16_e32 v13, 0x168, v1
	global_load_dwordx2 v[59:60], v[19:20], off offset:2800
	v_sub_u16_e32 v50, v23, v13
	global_load_dwordx2 v[46:47], v[46:47], off offset:2800
	v_lshlrev_b32_e32 v13, 3, v50
	global_load_dwordx2 v[61:62], v[26:27], off offset:432
	global_load_dwordx2 v[63:64], v13, s[8:9] offset:2800
	v_mul_u32_u24_sdwa v13, v6, s0 dst_sel:DWORD dst_unused:UNUSED_PAD src0_sel:WORD_0 src1_sel:DWORD
	v_lshrrev_b32_e32 v13, 22, v13
	v_mul_lo_u16_e32 v13, 0x168, v13
	v_add_u32_e32 v24, 0x360, v0
	v_sub_u16_e32 v65, v6, v13
	v_mul_u32_u24_sdwa v13, v24, s0 dst_sel:DWORD dst_unused:UNUSED_PAD src0_sel:WORD_0 src1_sel:DWORD
	v_lshrrev_b32_e32 v13, 22, v13
	v_mul_lo_u16_e32 v13, 0x168, v13
	v_sub_u16_e32 v67, v24, v13
	v_add_u32_e32 v13, 0x3c0, v0
	v_mul_u32_u24_sdwa v25, v13, s0 dst_sel:DWORD dst_unused:UNUSED_PAD src0_sel:WORD_0 src1_sel:DWORD
	v_lshrrev_b32_e32 v25, 22, v25
	v_mul_lo_u16_e32 v25, 0x168, v25
	v_lshlrev_b32_e32 v15, 3, v65
	v_lshlrev_b32_e32 v17, 3, v67
	v_sub_u16_e32 v85, v13, v25
	v_add_u32_e32 v25, 0x420, v0
	global_load_dwordx2 v[83:84], v15, s[8:9] offset:2800
	global_load_dwordx2 v[96:97], v17, s[8:9] offset:2800
	v_mul_u32_u24_sdwa v15, v25, s0 dst_sel:DWORD dst_unused:UNUSED_PAD src0_sel:WORD_0 src1_sel:DWORD
	v_lshrrev_b32_e32 v110, 22, v15
	v_mul_lo_u16_e32 v15, 0x168, v110
	v_sub_u16_e32 v111, v25, v15
	v_lshlrev_b32_e32 v102, 3, v85
	v_lshlrev_b32_e32 v15, 3, v111
	global_load_dwordx2 v[98:99], v102, s[8:9] offset:2800
	global_load_dwordx2 v[100:101], v15, s[8:9] offset:2800
	v_mul_u32_u24_sdwa v15, v4, s0 dst_sel:DWORD dst_unused:UNUSED_PAD src0_sel:WORD_0 src1_sel:DWORD
	v_lshrrev_b32_e32 v15, 22, v15
	v_mul_lo_u16_e32 v15, 0x168, v15
	v_add_u32_e32 v17, 0x4e0, v0
	v_sub_u16_e32 v112, v4, v15
	v_mul_u32_u24_sdwa v102, v17, s0 dst_sel:DWORD dst_unused:UNUSED_PAD src0_sel:WORD_0 src1_sel:DWORD
	v_lshlrev_b32_e32 v15, 3, v112
	v_lshrrev_b32_e32 v104, 22, v102
	global_load_dwordx2 v[102:103], v15, s[8:9] offset:2800
	v_mul_lo_u16_e32 v15, 0x168, v104
	v_sub_u16_e32 v113, v17, v15
	v_lshlrev_b32_e32 v15, 3, v113
	global_load_dwordx2 v[104:105], v15, s[8:9] offset:2800
	v_add_u32_e32 v15, 0x540, v0
	v_mul_u32_u24_sdwa v106, v15, s0 dst_sel:DWORD dst_unused:UNUSED_PAD src0_sel:WORD_0 src1_sel:DWORD
	v_lshrrev_b32_e32 v106, 22, v106
	v_mul_lo_u16_e32 v106, 0x168, v106
	v_sub_u16_e32 v114, v15, v106
	v_lshlrev_b32_e32 v106, 3, v114
	global_load_dwordx2 v[106:107], v106, s[8:9] offset:2800
	ds_read2_b32 v[108:109], v72 offset0:32 offset1:128
	s_movk_i32 s0, 0x47
	v_cmp_lt_u32_e64 s[0:1], s0, v0
	v_lshlrev_b32_e32 v9, 2, v9
	v_mul_u32_u24_e32 v1, 0xb40, v1
	s_waitcnt vmcnt(14) lgkmcnt(0)
	v_mul_f32_e32 v115, v108, v45
	v_fma_f32 v115, v86, v44, -v115
	v_mul_f32_e32 v86, v86, v45
	v_fmac_f32_e32 v86, v108, v44
	s_waitcnt vmcnt(12)
	v_mul_f32_e32 v44, v109, v56
	v_fma_f32 v108, v87, v55, -v44
	ds_read2_b32 v[44:45], v74 offset0:96 offset1:192
	v_mul_f32_e32 v87, v87, v56
	v_fmac_f32_e32 v87, v109, v55
	s_waitcnt vmcnt(10) lgkmcnt(0)
	v_mul_f32_e32 v55, v44, v60
	v_fma_f32 v109, v88, v59, -v55
	ds_read2_b32 v[55:56], v75 offset0:32 offset1:128
	v_mul_f32_e32 v88, v88, v60
	v_fmac_f32_e32 v88, v44, v59
	s_waitcnt vmcnt(9)
	v_mul_f32_e32 v44, v45, v47
	v_fma_f32 v59, v89, v46, -v44
	v_mul_f32_e32 v89, v89, v47
	s_waitcnt lgkmcnt(0)
	v_mul_f32_e32 v44, v55, v58
	v_fmac_f32_e32 v89, v45, v46
	v_fma_f32 v60, v90, v57, -v44
	ds_read2_b32 v[44:45], v76 offset0:96 offset1:192
	v_mul_f32_e32 v90, v90, v58
	v_mul_f32_e32 v46, v56, v49
	v_fmac_f32_e32 v90, v55, v57
	v_fma_f32 v55, v91, v48, -v46
	v_mul_f32_e32 v57, v91, v49
	s_waitcnt vmcnt(8) lgkmcnt(0)
	v_mul_f32_e32 v46, v44, v62
	v_fmac_f32_e32 v57, v56, v48
	v_fma_f32 v56, v92, v61, -v46
	ds_read2_b32 v[46:47], v77 offset0:32 offset1:128
	v_mul_f32_e32 v91, v92, v62
	v_fmac_f32_e32 v91, v44, v61
	s_waitcnt vmcnt(7)
	v_mul_f32_e32 v44, v45, v64
	v_fma_f32 v58, v93, v63, -v44
	v_mul_f32_e32 v92, v93, v64
	s_waitcnt vmcnt(6) lgkmcnt(0)
	v_mul_f32_e32 v44, v46, v84
	v_fmac_f32_e32 v92, v45, v63
	v_fma_f32 v61, v94, v83, -v44
	ds_read2_b32 v[44:45], v78 offset0:96 offset1:192
	v_mul_f32_e32 v93, v94, v84
	v_fmac_f32_e32 v93, v46, v83
	s_waitcnt vmcnt(5)
	v_mul_f32_e32 v46, v47, v97
	v_fma_f32 v62, v95, v96, -v46
	v_mul_f32_e32 v94, v95, v97
	s_waitcnt vmcnt(4) lgkmcnt(0)
	v_mul_f32_e32 v46, v44, v99
	v_fmac_f32_e32 v94, v47, v96
	v_fma_f32 v63, v40, v98, -v46
	ds_read2_b32 v[46:47], v5 offset0:32 offset1:128
	v_mul_f32_e32 v95, v40, v99
	s_waitcnt vmcnt(3)
	v_mul_f32_e32 v40, v45, v101
	v_fma_f32 v64, v41, v100, -v40
	v_fmac_f32_e32 v95, v44, v98
	s_waitcnt vmcnt(2) lgkmcnt(0)
	v_mul_f32_e32 v40, v46, v103
	v_mul_f32_e32 v96, v41, v101
	v_fma_f32 v83, v38, v102, -v40
	v_mul_f32_e32 v97, v38, v103
	s_waitcnt vmcnt(1)
	v_mul_f32_e32 v38, v47, v105
	v_mul_f32_e32 v98, v39, v105
	v_fmac_f32_e32 v96, v45, v100
	v_fmac_f32_e32 v97, v46, v102
	v_fma_f32 v38, v39, v104, -v38
	v_fmac_f32_e32 v98, v47, v104
	ds_read_b32 v39, v71 offset:11136
	ds_read_b32 v99, v53
	ds_read_b32 v100, v14
	;; [unrolled: 1-line block ×3, first 2 shown]
	ds_read_b32 v102, v71 offset:1920
	ds_read_b32 v103, v71 offset:3840
	s_waitcnt vmcnt(0) lgkmcnt(5)
	v_mul_f32_e32 v40, v39, v107
	v_mul_f32_e32 v104, v82, v107
	v_fma_f32 v84, v82, v106, -v40
	v_fmac_f32_e32 v104, v39, v106
	v_sub_f32_e32 v39, v36, v115
	v_sub_f32_e32 v82, v37, v108
	v_fma_f32 v105, v36, 2.0, -v39
	v_fma_f32 v106, v37, 2.0, -v82
	ds_read2_b32 v[36:37], v71 offset1:96
	ds_read2_b32 v[40:41], v73 offset0:64 offset1:160
	ds_read2_b32 v[44:45], v51 offset0:64 offset1:160
	ds_read2st64_b32 v[46:47], v52 offset0:13 offset1:16
	ds_read2_b32 v[48:49], v54 offset0:96 offset1:192
	s_waitcnt lgkmcnt(0)
	s_barrier
	ds_write2_b32 v71, v105, v106 offset1:96
	v_sub_f32_e32 v105, v34, v109
	v_fma_f32 v34, v34, 2.0, -v105
	ds_write2_b32 v73, v34, v39 offset0:64 offset1:232
	ds_write2_b32 v43, v82, v105 offset0:72 offset1:168
	v_mov_b32_e32 v39, 0xb40
	v_sub_f32_e32 v34, v35, v59
	v_cndmask_b32_e64 v39, 0, v39, s[0:1]
	v_fma_f32 v35, v35, 2.0, -v34
	v_add3_u32 v9, 0, v39, v9
	ds_write_b32 v9, v35
	ds_write_b32 v9, v34 offset:1440
	v_sub_f32_e32 v34, v70, v60
	v_sub_f32_e32 v39, v69, v55
	v_fma_f32 v35, v70, 2.0, -v34
	v_fma_f32 v55, v69, 2.0, -v39
	v_add_u32_e32 v70, 0xa00, v16
	ds_write2_b32 v70, v35, v55 offset0:104 offset1:200
	v_sub_f32_e32 v35, v32, v56
	v_fma_f32 v32, v32, 2.0, -v35
	v_add_u32_e32 v55, 0xe00, v16
	v_sub_f32_e32 v56, v36, v86
	ds_write2_b32 v55, v32, v34 offset0:40 offset1:208
	ds_write2_b32 v54, v39, v35 offset0:48 offset1:144
	v_sub_f32_e32 v86, v37, v87
	v_fma_f32 v87, v36, 2.0, -v56
	v_sub_f32_e32 v32, v33, v58
	v_sub_f32_e32 v36, v28, v38
	v_lshlrev_b32_e32 v38, 2, v50
	v_fma_f32 v33, v33, 2.0, -v32
	v_add3_u32 v1, 0, v1, v38
	v_sub_f32_e32 v34, v30, v62
	ds_write_b32 v1, v33
	ds_write_b32 v1, v32 offset:1440
	v_sub_f32_e32 v32, v68, v61
	v_fma_f32 v30, v30, 2.0, -v34
	v_fma_f32 v33, v68, 2.0, -v32
	v_lshl_add_u32 v50, v65, 2, 0
	v_lshl_add_u32 v106, v67, 2, 0
	ds_write_b32 v50, v33 offset:5760
	ds_write_b32 v50, v32 offset:7200
	;; [unrolled: 1-line block ×4, first 2 shown]
	v_sub_f32_e32 v30, v66, v63
	v_fma_f32 v32, v66, 2.0, -v30
	v_lshl_add_u32 v107, v85, 2, 0
	ds_write_b32 v107, v32 offset:5760
	ds_write_b32 v107, v30 offset:7200
	v_mul_u32_u24_e32 v30, 0xb40, v110
	v_lshlrev_b32_e32 v32, 2, v111
	v_fma_f32 v105, v37, 2.0, -v86
	v_sub_f32_e32 v35, v31, v64
	v_sub_f32_e32 v37, v29, v84
	v_add3_u32 v108, 0, v30, v32
	v_sub_f32_e32 v30, v18, v83
	v_fma_f32 v31, v31, 2.0, -v35
	v_fma_f32 v28, v28, 2.0, -v36
	;; [unrolled: 1-line block ×4, first 2 shown]
	v_lshl_add_u32 v109, v112, 2, 0
	v_lshl_add_u32 v110, v113, 2, 0
	;; [unrolled: 1-line block ×3, first 2 shown]
	ds_write_b32 v108, v31
	ds_write_b32 v108, v35 offset:1440
	ds_write_b32 v109, v18 offset:8640
	;; [unrolled: 1-line block ×7, first 2 shown]
	s_waitcnt lgkmcnt(0)
	s_barrier
	ds_read_b32 v38, v71 offset:1920
	ds_read_b32 v36, v71 offset:3840
	ds_read_b32 v18, v53
	ds_read_b32 v37, v14
	;; [unrolled: 1-line block ×3, first 2 shown]
	ds_read_b32 v112, v71 offset:11136
	ds_read2_b32 v[58:59], v71 offset1:96
	ds_read2_b32 v[60:61], v72 offset0:32 offset1:128
	ds_read2_b32 v[34:35], v73 offset0:64 offset1:160
	ds_read2_b32 v[62:63], v74 offset0:96 offset1:192
	ds_read2_b32 v[64:65], v75 offset0:32 offset1:128
	ds_read2_b32 v[32:33], v51 offset0:64 offset1:160
	ds_read2_b32 v[66:67], v76 offset0:96 offset1:192
	ds_read2_b32 v[68:69], v77 offset0:32 offset1:128
	ds_read2st64_b32 v[30:31], v52 offset0:13 offset1:16
	ds_read2_b32 v[82:83], v78 offset0:96 offset1:192
	ds_read2_b32 v[84:85], v5 offset0:32 offset1:128
	;; [unrolled: 1-line block ×3, first 2 shown]
	s_waitcnt lgkmcnt(0)
	s_barrier
	ds_write2_b32 v71, v87, v105 offset1:96
	v_sub_f32_e32 v87, v40, v88
	v_fma_f32 v40, v40, 2.0, -v87
	ds_write2_b32 v73, v40, v56 offset0:64 offset1:232
	v_sub_f32_e32 v40, v41, v89
	v_fma_f32 v41, v41, 2.0, -v40
	ds_write2_b32 v43, v86, v87 offset0:72 offset1:168
	ds_write_b32 v9, v41
	ds_write_b32 v9, v40 offset:1440
	v_sub_f32_e32 v9, v101, v90
	v_sub_f32_e32 v41, v102, v57
	v_fma_f32 v40, v101, 2.0, -v9
	v_fma_f32 v43, v102, 2.0, -v41
	ds_write2_b32 v70, v40, v43 offset0:104 offset1:200
	v_sub_f32_e32 v40, v44, v91
	v_fma_f32 v43, v44, 2.0, -v40
	ds_write2_b32 v55, v43, v9 offset0:40 offset1:208
	ds_write2_b32 v54, v41, v40 offset0:48 offset1:144
	v_sub_f32_e32 v9, v45, v92
	v_fma_f32 v40, v45, 2.0, -v9
	ds_write_b32 v1, v40
	ds_write_b32 v1, v9 offset:1440
	v_sub_f32_e32 v1, v100, v93
	v_fma_f32 v9, v100, 2.0, -v1
	ds_write_b32 v50, v9 offset:5760
	ds_write_b32 v50, v1 offset:7200
	v_sub_f32_e32 v1, v46, v94
	v_fma_f32 v9, v46, 2.0, -v1
	ds_write_b32 v106, v9 offset:5760
	;; [unrolled: 4-line block ×3, first 2 shown]
	ds_write_b32 v107, v1 offset:7200
	v_sub_f32_e32 v1, v47, v96
	v_fma_f32 v9, v47, 2.0, -v1
	ds_write_b32 v108, v9
	ds_write_b32 v108, v1 offset:1440
	v_sub_f32_e32 v1, v99, v97
	v_fma_f32 v9, v99, 2.0, -v1
	ds_write_b32 v109, v9 offset:8640
	ds_write_b32 v109, v1 offset:10080
	v_sub_f32_e32 v1, v48, v98
	v_fma_f32 v9, v48, 2.0, -v1
	ds_write_b32 v110, v9 offset:8640
	;; [unrolled: 4-line block ×3, first 2 shown]
	ds_write_b32 v111, v1 offset:10080
	s_waitcnt lgkmcnt(0)
	s_barrier
	global_load_dwordx2 v[40:41], v[26:27], off offset:1584
	global_load_dwordx2 v[43:44], v[26:27], off offset:2352
	;; [unrolled: 1-line block ×3, first 2 shown]
	v_add_co_u32_e64 v1, s[0:1], s8, v7
	v_addc_co_u32_e64 v55, s[0:1], v42, v8, s[0:1]
	v_add_co_u32_e64 v7, s[0:1], s6, v1
	v_addc_co_u32_e64 v8, s[0:1], 0, v55, s[0:1]
	global_load_dwordx2 v[47:48], v[26:27], off offset:3888
	global_load_dwordx2 v[49:50], v[7:8], off offset:1584
	v_add_u32_e32 v56, 0x240, v0
	v_mov_b32_e32 v57, v10
	v_add_co_u32_e64 v7, s[0:1], s7, v21
	v_lshlrev_b64 v[56:57], 3, v[56:57]
	v_addc_co_u32_e64 v8, s[0:1], 0, v22, s[0:1]
	v_add_co_u32_e64 v56, s[0:1], s8, v56
	v_addc_co_u32_e64 v57, s[0:1], v42, v57, s[0:1]
	v_add_co_u32_e64 v86, s[0:1], s6, v56
	v_addc_co_u32_e64 v87, s[0:1], 0, v57, s[0:1]
	global_load_dwordx2 v[88:89], v[7:8], off offset:1328
	global_load_dwordx2 v[90:91], v[86:87], off offset:1584
	v_subrev_u32_e32 v9, 48, v0
	v_cmp_gt_u32_e64 s[0:1], 48, v0
	v_cndmask_b32_e64 v9, v9, v23, s[0:1]
	v_lshlrev_b64 v[86:87], 3, v[9:10]
	v_lshlrev_b32_e32 v9, 2, v9
	v_add_co_u32_e64 v70, s[0:1], s8, v86
	v_addc_co_u32_e64 v87, s[0:1], v42, v87, s[0:1]
	v_add_co_u32_e64 v86, s[0:1], s6, v70
	v_addc_co_u32_e64 v87, s[0:1], 0, v87, s[0:1]
	global_load_dwordx2 v[92:93], v[86:87], off offset:1584
	global_load_dwordx2 v[94:95], v[26:27], off offset:2736
	;; [unrolled: 1-line block ×6, first 2 shown]
	v_add_u32_e32 v26, 0x210, v0
	v_mov_b32_e32 v27, v10
	v_lshlrev_b64 v[26:27], 3, v[26:27]
	v_add_u32_e32 v86, 0x270, v0
	v_add_co_u32_e64 v26, s[0:1], s8, v26
	v_addc_co_u32_e64 v27, s[0:1], v42, v27, s[0:1]
	v_mov_b32_e32 v87, v10
	v_add_co_u32_e64 v26, s[0:1], s6, v26
	v_lshlrev_b64 v[86:87], 3, v[86:87]
	v_addc_co_u32_e64 v27, s[0:1], 0, v27, s[0:1]
	v_add_co_u32_e64 v70, s[0:1], s8, v86
	v_addc_co_u32_e64 v42, s[0:1], v42, v87, s[0:1]
	global_load_dwordx2 v[26:27], v[26:27], off offset:1584
	v_add_co_u32_e64 v86, s[0:1], s6, v70
	v_addc_co_u32_e64 v87, s[0:1], 0, v42, s[0:1]
	global_load_dwordx2 v[86:87], v[86:87], off offset:1584
	ds_read2_b32 v[104:105], v72 offset0:32 offset1:128
	v_cmp_lt_u32_e64 s[0:1], 47, v0
	v_add_u32_e32 v108, 0x2800, v16
	s_waitcnt vmcnt(14) lgkmcnt(0)
	v_mul_f32_e32 v42, v104, v41
	v_fma_f32 v70, v60, v40, -v42
	v_mul_f32_e32 v60, v60, v41
	v_fmac_f32_e32 v60, v104, v40
	ds_read2_b32 v[40:41], v74 offset0:96 offset1:192
	s_waitcnt vmcnt(13)
	v_mul_f32_e32 v42, v105, v44
	v_fma_f32 v104, v61, v43, -v42
	v_mul_f32_e32 v44, v61, v44
	v_fmac_f32_e32 v44, v105, v43
	s_waitcnt vmcnt(12) lgkmcnt(0)
	v_mul_f32_e32 v42, v40, v46
	v_fma_f32 v61, v62, v45, -v42
	ds_read2_b32 v[42:43], v75 offset0:32 offset1:128
	v_mul_f32_e32 v105, v62, v46
	v_fmac_f32_e32 v105, v40, v45
	s_waitcnt vmcnt(11)
	v_mul_f32_e32 v40, v41, v48
	v_fma_f32 v45, v63, v47, -v40
	v_mul_f32_e32 v106, v63, v48
	s_waitcnt vmcnt(10) lgkmcnt(0)
	v_mul_f32_e32 v40, v42, v50
	v_fmac_f32_e32 v106, v41, v47
	v_fma_f32 v46, v64, v49, -v40
	ds_read2_b32 v[40:41], v76 offset0:96 offset1:192
	v_mul_f32_e32 v107, v64, v50
	v_fmac_f32_e32 v107, v42, v49
	s_waitcnt vmcnt(9)
	v_mul_f32_e32 v42, v43, v89
	v_fma_f32 v47, v65, v88, -v42
	v_mul_f32_e32 v89, v65, v89
	s_waitcnt vmcnt(8) lgkmcnt(0)
	v_mul_f32_e32 v42, v40, v91
	v_fmac_f32_e32 v89, v43, v88
	;; [unrolled: 11-line block ×3, first 2 shown]
	v_fma_f32 v50, v68, v96, -v40
	ds_read2_b32 v[40:41], v78 offset0:96 offset1:192
	v_mul_f32_e32 v91, v68, v97
	v_fmac_f32_e32 v91, v42, v96
	v_mul_f32_e32 v42, v43, v95
	v_fma_f32 v62, v69, v94, -v42
	v_mul_f32_e32 v92, v69, v95
	s_waitcnt vmcnt(4) lgkmcnt(0)
	v_mul_f32_e32 v42, v40, v99
	v_fmac_f32_e32 v92, v43, v94
	v_fma_f32 v93, v82, v98, -v42
	ds_read2_b32 v[42:43], v5 offset0:32 offset1:128
	v_mul_f32_e32 v94, v82, v99
	s_waitcnt vmcnt(3)
	v_mul_f32_e32 v95, v83, v101
	v_fmac_f32_e32 v94, v40, v98
	v_mul_f32_e32 v40, v41, v101
	v_fmac_f32_e32 v95, v41, v100
	s_waitcnt vmcnt(2) lgkmcnt(0)
	v_mul_f32_e32 v41, v42, v103
	v_fma_f32 v41, v84, v102, -v41
	v_mul_f32_e32 v84, v84, v103
	v_fmac_f32_e32 v84, v42, v102
	s_waitcnt vmcnt(1)
	v_mul_f32_e32 v42, v43, v27
	v_fma_f32 v42, v85, v26, -v42
	v_mul_f32_e32 v85, v85, v27
	v_fma_f32 v40, v83, v100, -v40
	v_fmac_f32_e32 v85, v43, v26
	ds_read_b32 v26, v71 offset:11136
	ds_read_b32 v96, v53
	ds_read_b32 v97, v14
	;; [unrolled: 1-line block ×3, first 2 shown]
	ds_read_b32 v99, v71 offset:1920
	ds_read_b32 v100, v71 offset:3840
	s_waitcnt vmcnt(0) lgkmcnt(5)
	v_mul_f32_e32 v27, v26, v87
	v_mul_f32_e32 v87, v112, v87
	v_fmac_f32_e32 v87, v26, v86
	v_sub_f32_e32 v26, v58, v70
	v_sub_f32_e32 v43, v59, v104
	v_fma_f32 v58, v58, 2.0, -v26
	v_fma_f32 v59, v59, 2.0, -v43
	ds_read2_b32 v[63:64], v71 offset1:96
	ds_read2_b32 v[65:66], v73 offset0:64 offset1:160
	ds_read2_b32 v[67:68], v51 offset0:64 offset1:160
	ds_read2st64_b32 v[69:70], v52 offset0:13 offset1:16
	ds_read2_b32 v[82:83], v54 offset0:96 offset1:192
	s_waitcnt lgkmcnt(0)
	s_barrier
	ds_write2_b32 v71, v58, v59 offset1:96
	ds_write2_b32 v81, v26, v43 offset0:80 offset1:176
	v_sub_f32_e32 v26, v34, v61
	v_sub_f32_e32 v43, v35, v45
	v_fma_f32 v34, v34, 2.0, -v26
	v_fma_f32 v35, v35, 2.0, -v43
	ds_write2_b32 v73, v34, v35 offset0:64 offset1:160
	ds_write2_b32 v80, v26, v43 offset0:144 offset1:240
	v_sub_f32_e32 v35, v39, v46
	v_fma_f32 v39, v39, 2.0, -v35
	ds_write_b32 v79, v39
	ds_write_b32 v79, v35 offset:2880
	v_sub_f32_e32 v35, v38, v47
	v_sub_f32_e32 v26, v32, v48
	v_fma_f32 v38, v38, 2.0, -v35
	v_fma_f32 v32, v32, 2.0, -v26
	ds_write_b32 v71, v38 offset:1920
	ds_write_b32 v71, v35 offset:4800
	;; [unrolled: 1-line block ×4, first 2 shown]
	v_mov_b32_e32 v26, 0x1680
	v_sub_f32_e32 v34, v33, v49
	v_cndmask_b32_e64 v26, 0, v26, s[0:1]
	v_fma_f32 v33, v33, 2.0, -v34
	v_add3_u32 v26, 0, v26, v9
	ds_write_b32 v26, v33
	ds_write_b32 v26, v34 offset:2880
	v_sub_f32_e32 v9, v37, v50
	v_sub_f32_e32 v33, v30, v62
	v_fma_f32 v27, v112, v86, -v27
	v_fma_f32 v32, v37, 2.0, -v9
	v_fma_f32 v30, v30, 2.0, -v33
	v_add_u32_e32 v86, 0x1600, v16
	ds_write2_b32 v86, v32, v30 offset0:80 offset1:176
	v_sub_f32_e32 v30, v36, v93
	v_add_u32_e32 v93, 0x2400, v16
	v_sub_f32_e32 v32, v31, v40
	ds_write2_b32 v93, v33, v30 offset1:96
	v_fma_f32 v30, v36, 2.0, -v30
	v_fma_f32 v31, v31, 2.0, -v32
	v_add_u32_e32 v101, 0x1800, v16
	ds_write2_b32 v101, v30, v31 offset0:144 offset1:240
	v_sub_f32_e32 v30, v18, v41
	v_add_u32_e32 v102, 0x2600, v16
	ds_write2_b32 v102, v32, v30 offset0:64 offset1:160
	v_fma_f32 v18, v18, 2.0, -v30
	v_sub_f32_e32 v30, v28, v42
	v_fma_f32 v28, v28, 2.0, -v30
	v_add_u32_e32 v103, 0x1c00, v16
	ds_write2_b32 v103, v18, v28 offset0:80 offset1:176
	v_sub_f32_e32 v18, v29, v27
	v_fma_f32 v27, v29, 2.0, -v18
	v_add_u32_e32 v104, 0x2000, v16
	ds_write2_b32 v104, v27, v9 offset0:16 offset1:160
	ds_write2_b32 v108, v30, v18 offset0:128 offset1:224
	v_sub_f32_e32 v18, v63, v60
	v_sub_f32_e32 v109, v64, v44
	s_waitcnt lgkmcnt(0)
	s_barrier
	ds_read_b32 v9, v71 offset:1920
	ds_read_b32 v60, v71 offset:3840
	ds_read_b32 v61, v53
	ds_read_b32 v59, v14
	ds_read_b32 v58, v79
	ds_read_b32 v62, v71 offset:11136
	ds_read2_b32 v[27:28], v71 offset1:96
	ds_read2_b32 v[29:30], v72 offset0:32 offset1:128
	ds_read2_b32 v[31:32], v73 offset0:64 offset1:160
	ds_read2_b32 v[33:34], v74 offset0:96 offset1:192
	ds_read2_b32 v[35:36], v75 offset0:32 offset1:128
	ds_read2_b32 v[37:38], v51 offset0:64 offset1:160
	ds_read2_b32 v[39:40], v76 offset0:96 offset1:192
	ds_read2_b32 v[41:42], v77 offset0:32 offset1:128
	ds_read2st64_b32 v[43:44], v52 offset0:13 offset1:16
	ds_read2_b32 v[45:46], v78 offset0:96 offset1:192
	ds_read2_b32 v[47:48], v5 offset0:32 offset1:128
	ds_read2_b32 v[49:50], v54 offset0:96 offset1:192
	s_waitcnt lgkmcnt(0)
	s_barrier
	ds_write2_b32 v81, v18, v109 offset0:80 offset1:176
	v_fma_f32 v18, v63, 2.0, -v18
	v_fma_f32 v63, v64, 2.0, -v109
	v_sub_f32_e32 v64, v65, v105
	v_sub_f32_e32 v81, v66, v106
	ds_write2_b32 v80, v64, v81 offset0:144 offset1:240
	v_fma_f32 v64, v65, 2.0, -v64
	v_fma_f32 v65, v66, 2.0, -v81
	ds_write2_b32 v71, v18, v63 offset1:96
	ds_write2_b32 v73, v64, v65 offset0:64 offset1:160
	v_sub_f32_e32 v18, v98, v107
	v_fma_f32 v63, v98, 2.0, -v18
	ds_write_b32 v79, v63
	ds_write_b32 v79, v18 offset:2880
	v_sub_f32_e32 v18, v99, v89
	v_fma_f32 v63, v99, 2.0, -v18
	ds_write_b32 v71, v63 offset:1920
	ds_write_b32 v71, v18 offset:4800
	v_sub_f32_e32 v18, v67, v88
	v_fma_f32 v63, v67, 2.0, -v18
	ds_write_b32 v16, v63 offset:2304
	ds_write_b32 v16, v18 offset:5184
	v_sub_f32_e32 v16, v68, v90
	v_fma_f32 v18, v68, 2.0, -v16
	ds_write_b32 v26, v18
	ds_write_b32 v26, v16 offset:2880
	v_sub_f32_e32 v16, v97, v91
	v_sub_f32_e32 v26, v69, v92
	v_fma_f32 v18, v97, 2.0, -v16
	v_fma_f32 v63, v69, 2.0, -v26
	ds_write2_b32 v86, v18, v63 offset0:80 offset1:176
	v_sub_f32_e32 v18, v100, v94
	ds_write2_b32 v93, v26, v18 offset1:96
	v_sub_f32_e32 v26, v70, v95
	v_fma_f32 v18, v100, 2.0, -v18
	v_fma_f32 v63, v70, 2.0, -v26
	ds_write2_b32 v101, v18, v63 offset0:144 offset1:240
	v_sub_f32_e32 v18, v96, v84
	ds_write2_b32 v102, v26, v18 offset0:64 offset1:160
	v_sub_f32_e32 v26, v82, v85
	v_fma_f32 v18, v96, 2.0, -v18
	v_fma_f32 v63, v82, 2.0, -v26
	ds_write2_b32 v103, v18, v63 offset0:80 offset1:176
	v_sub_f32_e32 v18, v83, v87
	v_fma_f32 v63, v83, 2.0, -v18
	ds_write2_b32 v104, v63, v16 offset0:16 offset1:160
	ds_write2_b32 v108, v26, v18 offset0:128 offset1:224
	s_waitcnt lgkmcnt(0)
	s_barrier
	s_and_saveexec_b64 s[0:1], vcc
	s_cbranch_execz .LBB0_15
; %bb.14:
	v_add_co_u32_e32 v91, vcc, 0x300, v21
	v_mov_b32_e32 v16, v10
	s_mov_b64 s[4:5], vcc
	v_add_co_u32_e32 v89, vcc, 0x900, v21
	v_lshlrev_b64 v[63:64], 3, v[15:16]
	s_mov_b64 s[0:1], vcc
	v_add_co_u32_e32 v85, vcc, 0xf00, v21
	s_mov_b64 s[2:3], vcc
	v_mov_b32_e32 v16, s9
	v_add_co_u32_e32 v18, vcc, s8, v63
	v_addc_co_u32_e32 v21, vcc, v16, v64, vcc
	v_add_co_u32_e32 v63, vcc, s7, v18
	v_mov_b32_e32 v18, v10
	v_lshlrev_b64 v[65:66], 3, v[17:18]
	v_addc_co_u32_e32 v64, vcc, 0, v21, vcc
	v_add_co_u32_e32 v18, vcc, s8, v65
	v_addc_co_u32_e32 v21, vcc, v16, v66, vcc
	v_add_co_u32_e32 v65, vcc, s7, v18
	v_addc_co_u32_e32 v66, vcc, 0, v21, vcc
	global_load_dwordx2 v[63:64], v[63:64], off offset:3248
	v_addc_co_u32_e64 v95, vcc, 0, v22, s[4:5]
	global_load_dwordx2 v[65:66], v[65:66], off offset:3248
	ds_read2_b32 v[67:68], v54 offset0:96 offset1:192
	ds_read2_b32 v[69:70], v5 offset0:32 offset1:128
	v_mov_b32_e32 v5, v10
	v_lshlrev_b64 v[4:5], 3, v[4:5]
	v_mov_b32_e32 v26, v10
	v_add_co_u32_e32 v4, vcc, s8, v4
	v_addc_co_u32_e32 v5, vcc, v16, v5, vcc
	v_add_co_u32_e32 v4, vcc, s7, v4
	v_addc_co_u32_e32 v5, vcc, 0, v5, vcc
	ds_read_b32 v18, v53
	ds_read_b32 v93, v14
	;; [unrolled: 1-line block ×3, first 2 shown]
	ds_read_b32 v81, v71 offset:11136
	ds_read_b32 v92, v71 offset:3840
	global_load_dwordx2 v[4:5], v[4:5], off offset:3248
	v_mov_b32_e32 v14, v10
	v_lshlrev_b64 v[25:26], 3, v[25:26]
	v_lshlrev_b64 v[53:54], 3, v[13:14]
	v_addc_co_u32_e64 v14, vcc, 0, v22, s[0:1]
	v_addc_co_u32_e64 v86, vcc, 0, v22, s[2:3]
	v_add_co_u32_e32 v21, vcc, s8, v25
	v_addc_co_u32_e32 v22, vcc, v16, v26, vcc
	v_add_co_u32_e32 v25, vcc, s8, v53
	v_addc_co_u32_e32 v82, vcc, v16, v54, vcc
	;; [unrolled: 2-line block ×3, first 2 shown]
	global_load_dwordx2 v[53:54], v[21:22], off offset:3248
	global_load_dwordx2 v[79:80], v[7:8], off offset:3248
	ds_read2st64_b32 v[87:88], v52 offset0:13 offset1:16
	s_movk_i32 s0, 0x3000
	s_movk_i32 s1, 0x5000
	s_waitcnt vmcnt(4) lgkmcnt(2)
	v_mul_f32_e32 v8, v64, v81
	v_fma_f32 v8, v62, v63, -v8
	v_mul_f32_e32 v7, v63, v81
	s_waitcnt vmcnt(3)
	v_mul_f32_e32 v26, v65, v70
	v_mul_f32_e32 v70, v66, v70
	v_fmac_f32_e32 v26, v48, v66
	v_add_co_u32_e32 v66, vcc, s7, v25
	v_mov_b32_e32 v25, v10
	v_sub_f32_e32 v21, v50, v8
	v_sub_f32_e32 v8, v67, v26
	v_lshlrev_b64 v[24:25], 3, v[24:25]
	v_fmac_f32_e32 v7, v62, v64
	v_fma_f32 v26, v67, 2.0, -v8
	v_addc_co_u32_e32 v67, vcc, 0, v82, vcc
	v_sub_f32_e32 v22, v68, v7
	global_load_dwordx2 v[66:67], v[66:67], off offset:3248
	v_add_co_u32_e32 v7, vcc, s8, v24
	v_addc_co_u32_e32 v25, vcc, v16, v25, vcc
	v_add_co_u32_e32 v24, vcc, s7, v7
	v_mov_b32_e32 v7, v10
	v_lshlrev_b64 v[6:7], 3, v[6:7]
	v_addc_co_u32_e32 v25, vcc, 0, v25, vcc
	v_add_co_u32_e32 v6, vcc, s8, v6
	v_addc_co_u32_e32 v7, vcc, v16, v7, vcc
	v_add_co_u32_e32 v6, vcc, s7, v6
	global_load_dwordx2 v[81:82], v[24:25], off offset:3248
	v_addc_co_u32_e32 v7, vcc, 0, v7, vcc
	global_load_dwordx2 v[83:84], v[6:7], off offset:3248
	v_mov_b32_e32 v24, v10
	v_lshlrev_b64 v[6:7], 3, v[23:24]
	v_fma_f32 v63, v68, 2.0, -v22
	v_add_co_u32_e32 v6, vcc, s8, v6
	v_addc_co_u32_e32 v7, vcc, v16, v7, vcc
	v_add_co_u32_e32 v6, vcc, s7, v6
	v_addc_co_u32_e32 v7, vcc, 0, v7, vcc
	global_load_dwordx2 v[23:24], v[6:7], off offset:3248
	v_fma_f32 v6, v48, v65, -v70
	v_sub_f32_e32 v7, v49, v6
	v_add_co_u32_e32 v48, vcc, s7, v56
	v_fma_f32 v25, v49, 2.0, -v7
	v_addc_co_u32_e32 v49, vcc, 0, v57, vcc
	global_load_dwordx2 v[48:49], v[48:49], off offset:3248
	v_add_co_u32_e32 v64, vcc, s7, v85
	v_addc_co_u32_e32 v65, vcc, 0, v86, vcc
	s_waitcnt vmcnt(7)
	v_mul_f32_e32 v6, v4, v69
	global_load_dwordx2 v[64:65], v[64:65], off offset:3248
	v_fmac_f32_e32 v6, v47, v5
	v_mul_f32_e32 v5, v5, v69
	v_fma_f32 v16, v47, v4, -v5
	v_add_co_u32_e32 v4, vcc, s7, v1
	ds_read2_b32 v[68:69], v78 offset0:96 offset1:192
	v_addc_co_u32_e32 v5, vcc, 0, v55, vcc
	global_load_dwordx2 v[85:86], v[4:5], off offset:3248
	v_add_co_u32_e32 v89, vcc, s7, v89
	v_sub_f32_e32 v6, v18, v6
	v_addc_co_u32_e32 v90, vcc, 0, v14, vcc
	v_fma_f32 v56, v18, 2.0, -v6
	s_waitcnt vmcnt(8) lgkmcnt(0)
	v_mul_f32_e32 v1, v53, v69
	global_load_dwordx2 v[89:90], v[89:90], off offset:3248
	v_add_co_u32_e32 v18, vcc, s7, v19
	v_fmac_f32_e32 v1, v46, v54
	v_addc_co_u32_e32 v19, vcc, 0, v20, vcc
	v_sub_f32_e32 v47, v88, v1
	v_mul_f32_e32 v1, v54, v69
	v_add_co_u32_e32 v52, vcc, s7, v91
	v_fma_f32 v1, v46, v53, -v1
	v_addc_co_u32_e32 v53, vcc, 0, v95, vcc
	global_load_dwordx2 v[52:53], v[52:53], off offset:3248
	v_sub_f32_e32 v46, v44, v1
	global_load_dwordx2 v[18:19], v[18:19], off offset:3248
	v_sub_f32_e32 v5, v61, v16
	s_waitcnt vmcnt(9)
	v_mul_f32_e32 v1, v66, v68
	v_fmac_f32_e32 v1, v45, v67
	v_sub_f32_e32 v78, v92, v1
	v_fma_f32 v55, v61, 2.0, -v5
	v_fma_f32 v61, v92, 2.0, -v78
	ds_read2_b32 v[91:92], v77 offset0:32 offset1:128
	v_mul_f32_e32 v1, v67, v68
	v_fma_f32 v1, v45, v66, -v1
	v_sub_f32_e32 v77, v60, v1
	v_fma_f32 v70, v88, 2.0, -v47
	v_fma_f32 v69, v44, 2.0, -v46
	v_fma_f32 v62, v50, 2.0, -v21
	ds_read2_b32 v[50:51], v51 offset0:64 offset1:160
	ds_read_b32 v4, v71 offset:1920
	v_add_co_u32_e32 v16, vcc, s12, v2
	v_fma_f32 v60, v60, 2.0, -v77
	s_waitcnt vmcnt(8) lgkmcnt(2)
	v_mul_f32_e32 v1, v81, v92
	v_fmac_f32_e32 v1, v42, v82
	v_sub_f32_e32 v45, v87, v1
	v_mul_f32_e32 v1, v82, v92
	v_fma_f32 v67, v87, 2.0, -v45
	v_fma_f32 v1, v42, v81, -v1
	ds_read2_b32 v[87:88], v76 offset0:96 offset1:192
	v_sub_f32_e32 v44, v43, v1
	s_waitcnt vmcnt(7)
	v_mul_f32_e32 v1, v83, v91
	v_fmac_f32_e32 v1, v41, v84
	v_sub_f32_e32 v42, v93, v1
	v_mul_f32_e32 v1, v84, v91
	v_fma_f32 v1, v41, v83, -v1
	v_sub_f32_e32 v41, v59, v1
	v_fma_f32 v82, v93, 2.0, -v42
	s_waitcnt vmcnt(6) lgkmcnt(0)
	v_mul_f32_e32 v1, v23, v88
	v_fmac_f32_e32 v1, v40, v24
	v_sub_f32_e32 v84, v51, v1
	v_mul_f32_e32 v1, v24, v88
	v_fma_f32 v1, v40, v23, -v1
	v_sub_f32_e32 v83, v38, v1
	v_fma_f32 v92, v51, 2.0, -v84
	v_fma_f32 v91, v38, 2.0, -v83
	s_waitcnt vmcnt(5)
	v_mul_f32_e32 v1, v48, v87
	v_fmac_f32_e32 v1, v39, v49
	v_sub_f32_e32 v24, v50, v1
	v_fma_f32 v38, v50, 2.0, -v24
	ds_read2_b32 v[50:51], v75 offset0:32 offset1:128
	v_mul_f32_e32 v1, v49, v87
	v_fma_f32 v1, v39, v48, -v1
	v_sub_f32_e32 v23, v37, v1
	v_fma_f32 v37, v37, 2.0, -v23
	s_waitcnt vmcnt(4) lgkmcnt(0)
	v_mul_f32_e32 v1, v64, v51
	v_fmac_f32_e32 v1, v36, v65
	v_sub_f32_e32 v40, v4, v1
	v_mul_f32_e32 v1, v65, v51
	v_fma_f32 v1, v36, v64, -v1
	ds_read2_b32 v[64:65], v74 offset0:96 offset1:192
	v_sub_f32_e32 v39, v9, v1
	s_waitcnt vmcnt(3)
	v_mul_f32_e32 v1, v85, v50
	v_fmac_f32_e32 v1, v35, v86
	ds_read2_b32 v[73:74], v73 offset0:64 offset1:160
	v_sub_f32_e32 v36, v94, v1
	v_mul_f32_e32 v1, v86, v50
	v_fma_f32 v1, v35, v85, -v1
	v_sub_f32_e32 v35, v58, v1
	s_waitcnt vmcnt(2) lgkmcnt(1)
	v_mul_f32_e32 v1, v89, v65
	v_fmac_f32_e32 v1, v34, v90
	v_fma_f32 v50, v58, 2.0, -v35
	s_waitcnt lgkmcnt(0)
	v_sub_f32_e32 v58, v74, v1
	v_mul_f32_e32 v1, v90, v65
	v_fma_f32 v1, v34, v89, -v1
	v_sub_f32_e32 v57, v32, v1
	v_fma_f32 v48, v9, 2.0, -v39
	v_or_b32_e32 v9, 0x600, v0
	v_fma_f32 v49, v4, 2.0, -v40
	v_fma_f32 v75, v74, 2.0, -v58
	;; [unrolled: 1-line block ×6, first 2 shown]
	s_waitcnt vmcnt(0)
	v_mul_f32_e32 v1, v18, v64
	v_fmac_f32_e32 v1, v33, v19
	v_sub_f32_e32 v20, v73, v1
	v_mul_f32_e32 v1, v19, v64
	ds_read2_b32 v[64:65], v72 offset0:32 offset1:128
	v_fma_f32 v1, v33, v18, -v1
	ds_read2_b32 v[33:34], v71 offset1:96
	v_sub_f32_e32 v19, v31, v1
	v_fma_f32 v32, v73, 2.0, -v20
	s_waitcnt lgkmcnt(1)
	v_mul_f32_e32 v1, v52, v65
	v_fmac_f32_e32 v1, v30, v53
	s_waitcnt lgkmcnt(0)
	v_sub_f32_e32 v54, v34, v1
	v_mul_f32_e32 v1, v53, v65
	v_fma_f32 v1, v30, v52, -v1
	v_sub_f32_e32 v53, v28, v1
	v_mul_f32_e32 v1, v79, v64
	v_fmac_f32_e32 v1, v29, v80
	v_sub_f32_e32 v30, v33, v1
	v_mul_f32_e32 v1, v80, v64
	v_fma_f32 v1, v29, v79, -v1
	v_sub_f32_e32 v29, v27, v1
	v_mov_b32_e32 v1, s13
	v_fma_f32 v71, v28, 2.0, -v53
	v_fma_f32 v28, v33, 2.0, -v30
	v_addc_co_u32_e32 v33, vcc, v1, v3, vcc
	v_add_co_u32_e32 v1, vcc, v16, v11
	v_addc_co_u32_e32 v2, vcc, v33, v12, vcc
	v_add_co_u32_e32 v3, vcc, s7, v1
	v_lshlrev_b64 v[11:12], 3, v[9:10]
	v_addc_co_u32_e32 v4, vcc, 0, v2, vcc
	v_add_co_u32_e32 v11, vcc, v16, v11
	v_fma_f32 v27, v27, 2.0, -v29
	v_addc_co_u32_e32 v12, vcc, v33, v12, vcc
	v_fma_f32 v31, v31, 2.0, -v19
	v_fma_f32 v72, v34, 2.0, -v54
	global_store_dwordx2 v[1:2], v[27:28], off
	global_store_dwordx2 v[3:4], v[29:30], off offset:3328
	global_store_dwordx2 v[1:2], v[71:72], off offset:768
	global_store_dwordx2 v[11:12], v[53:54], off
	global_store_dwordx2 v[1:2], v[31:32], off offset:1536
	v_add_co_u32_e32 v11, vcc, s0, v1
	v_addc_co_u32_e32 v12, vcc, 0, v2, vcc
	v_or_b32_e32 v9, 0x780, v0
	global_store_dwordx2 v[11:12], v[19:20], off offset:768
	global_store_dwordx2 v[1:2], v[74:75], off offset:2304
	;; [unrolled: 1-line block ×6, first 2 shown]
	v_lshlrev_b64 v[18:19], 3, v[9:10]
	s_movk_i32 s0, 0x4000
	v_add_co_u32_e32 v18, vcc, v16, v18
	v_addc_co_u32_e32 v19, vcc, v33, v19, vcc
	global_store_dwordx2 v[18:19], v[39:40], off
	v_add_co_u32_e32 v18, vcc, s6, v1
	v_addc_co_u32_e32 v19, vcc, 0, v2, vcc
	v_or_b32_e32 v9, 0x300, v0
	global_store_dwordx2 v[18:19], v[37:38], off offset:512
	global_store_dwordx2 v[11:12], v[23:24], off offset:3840
	global_store_dwordx2 v[18:19], v[91:92], off offset:1280
	v_add_co_u32_e32 v11, vcc, s0, v1
	v_lshlrev_b64 v[23:24], 3, v[9:10]
	v_addc_co_u32_e32 v12, vcc, 0, v2, vcc
	v_add_co_u32_e32 v23, vcc, v16, v23
	v_addc_co_u32_e32 v24, vcc, v33, v24, vcc
	v_or_b32_e32 v9, 0x900, v0
	global_store_dwordx2 v[11:12], v[83:84], off offset:512
	global_store_dwordx2 v[23:24], v[81:82], off
	global_store_dwordx2 v[11:12], v[41:42], off offset:1280
	global_store_dwordx2 v[18:19], v[66:67], off offset:2816
	v_lshlrev_b64 v[18:19], 3, v[9:10]
	v_lshrrev_b32_e32 v9, 5, v13
	s_mov_b32 s0, 0x5b05b06
	v_mul_hi_u32 v9, v9, s0
	v_add_co_u32_e32 v18, vcc, v16, v18
	v_addc_co_u32_e32 v19, vcc, v33, v19, vcc
	v_mad_u32_u24 v9, v9, s10, v13
	v_lshlrev_b64 v[13:14], 3, v[9:10]
	global_store_dwordx2 v[18:19], v[44:45], off
	v_add_co_u32_e32 v13, vcc, v16, v13
	v_addc_co_u32_e32 v14, vcc, v33, v14, vcc
	global_store_dwordx2 v[13:14], v[60:61], off
	v_add_co_u32_e32 v13, vcc, s7, v13
	v_addc_co_u32_e32 v14, vcc, 0, v14, vcc
	v_or_b32_e32 v9, 0x480, v0
	global_store_dwordx2 v[13:14], v[77:78], off offset:3328
	global_store_dwordx2 v[3:4], v[69:70], off offset:256
	;; [unrolled: 1-line block ×3, first 2 shown]
	v_lshlrev_b64 v[3:4], 3, v[9:10]
	v_add_co_u32_e32 v3, vcc, v16, v3
	v_addc_co_u32_e32 v4, vcc, v33, v4, vcc
	v_add_co_u32_e32 v0, vcc, s1, v1
	v_lshrrev_b32_e32 v1, 5, v17
	global_store_dwordx2 v[3:4], v[55:56], off
	v_mul_hi_u32 v3, v1, s0
	v_addc_co_u32_e32 v1, vcc, 0, v2, vcc
	global_store_dwordx2 v[0:1], v[5:6], off offset:256
	v_mad_u32_u24 v9, v3, s10, v17
	v_lshlrev_b64 v[0:1], 3, v[9:10]
	v_lshrrev_b32_e32 v2, 5, v15
	v_mul_hi_u32 v2, v2, s0
	v_add_co_u32_e32 v0, vcc, v16, v0
	v_addc_co_u32_e32 v1, vcc, v33, v1, vcc
	global_store_dwordx2 v[0:1], v[25:26], off
	v_add_co_u32_e32 v0, vcc, s7, v0
	v_addc_co_u32_e32 v1, vcc, 0, v1, vcc
	v_mad_u32_u24 v9, v2, s10, v15
	global_store_dwordx2 v[0:1], v[7:8], off offset:3328
	v_lshlrev_b64 v[0:1], 3, v[9:10]
	v_add_co_u32_e32 v0, vcc, v16, v0
	v_addc_co_u32_e32 v1, vcc, v33, v1, vcc
	global_store_dwordx2 v[0:1], v[62:63], off
	v_add_co_u32_e32 v0, vcc, 0x2000, v0
	v_addc_co_u32_e32 v1, vcc, 0, v1, vcc
	global_store_dwordx2 v[0:1], v[21:22], off offset:3328
.LBB0_15:
	s_endpgm
	.section	.rodata,"a",@progbits
	.p2align	6, 0x0
	.amdhsa_kernel fft_rtc_fwd_len2880_factors_10_6_6_2_2_2_wgs_96_tpt_96_halfLds_sp_ip_CI_unitstride_sbrr_dirReg
		.amdhsa_group_segment_fixed_size 0
		.amdhsa_private_segment_fixed_size 0
		.amdhsa_kernarg_size 88
		.amdhsa_user_sgpr_count 6
		.amdhsa_user_sgpr_private_segment_buffer 1
		.amdhsa_user_sgpr_dispatch_ptr 0
		.amdhsa_user_sgpr_queue_ptr 0
		.amdhsa_user_sgpr_kernarg_segment_ptr 1
		.amdhsa_user_sgpr_dispatch_id 0
		.amdhsa_user_sgpr_flat_scratch_init 0
		.amdhsa_user_sgpr_private_segment_size 0
		.amdhsa_uses_dynamic_stack 0
		.amdhsa_system_sgpr_private_segment_wavefront_offset 0
		.amdhsa_system_sgpr_workgroup_id_x 1
		.amdhsa_system_sgpr_workgroup_id_y 0
		.amdhsa_system_sgpr_workgroup_id_z 0
		.amdhsa_system_sgpr_workgroup_info 0
		.amdhsa_system_vgpr_workitem_id 0
		.amdhsa_next_free_vgpr 129
		.amdhsa_next_free_sgpr 22
		.amdhsa_reserve_vcc 1
		.amdhsa_reserve_flat_scratch 0
		.amdhsa_float_round_mode_32 0
		.amdhsa_float_round_mode_16_64 0
		.amdhsa_float_denorm_mode_32 3
		.amdhsa_float_denorm_mode_16_64 3
		.amdhsa_dx10_clamp 1
		.amdhsa_ieee_mode 1
		.amdhsa_fp16_overflow 0
		.amdhsa_exception_fp_ieee_invalid_op 0
		.amdhsa_exception_fp_denorm_src 0
		.amdhsa_exception_fp_ieee_div_zero 0
		.amdhsa_exception_fp_ieee_overflow 0
		.amdhsa_exception_fp_ieee_underflow 0
		.amdhsa_exception_fp_ieee_inexact 0
		.amdhsa_exception_int_div_zero 0
	.end_amdhsa_kernel
	.text
.Lfunc_end0:
	.size	fft_rtc_fwd_len2880_factors_10_6_6_2_2_2_wgs_96_tpt_96_halfLds_sp_ip_CI_unitstride_sbrr_dirReg, .Lfunc_end0-fft_rtc_fwd_len2880_factors_10_6_6_2_2_2_wgs_96_tpt_96_halfLds_sp_ip_CI_unitstride_sbrr_dirReg
                                        ; -- End function
	.section	.AMDGPU.csdata,"",@progbits
; Kernel info:
; codeLenInByte = 16608
; NumSgprs: 26
; NumVgprs: 129
; ScratchSize: 0
; MemoryBound: 0
; FloatMode: 240
; IeeeMode: 1
; LDSByteSize: 0 bytes/workgroup (compile time only)
; SGPRBlocks: 3
; VGPRBlocks: 32
; NumSGPRsForWavesPerEU: 26
; NumVGPRsForWavesPerEU: 129
; Occupancy: 1
; WaveLimiterHint : 1
; COMPUTE_PGM_RSRC2:SCRATCH_EN: 0
; COMPUTE_PGM_RSRC2:USER_SGPR: 6
; COMPUTE_PGM_RSRC2:TRAP_HANDLER: 0
; COMPUTE_PGM_RSRC2:TGID_X_EN: 1
; COMPUTE_PGM_RSRC2:TGID_Y_EN: 0
; COMPUTE_PGM_RSRC2:TGID_Z_EN: 0
; COMPUTE_PGM_RSRC2:TIDIG_COMP_CNT: 0
	.type	__hip_cuid_b8a139546a84419e,@object ; @__hip_cuid_b8a139546a84419e
	.section	.bss,"aw",@nobits
	.globl	__hip_cuid_b8a139546a84419e
__hip_cuid_b8a139546a84419e:
	.byte	0                               ; 0x0
	.size	__hip_cuid_b8a139546a84419e, 1

	.ident	"AMD clang version 19.0.0git (https://github.com/RadeonOpenCompute/llvm-project roc-6.4.0 25133 c7fe45cf4b819c5991fe208aaa96edf142730f1d)"
	.section	".note.GNU-stack","",@progbits
	.addrsig
	.addrsig_sym __hip_cuid_b8a139546a84419e
	.amdgpu_metadata
---
amdhsa.kernels:
  - .args:
      - .actual_access:  read_only
        .address_space:  global
        .offset:         0
        .size:           8
        .value_kind:     global_buffer
      - .offset:         8
        .size:           8
        .value_kind:     by_value
      - .actual_access:  read_only
        .address_space:  global
        .offset:         16
        .size:           8
        .value_kind:     global_buffer
      - .actual_access:  read_only
        .address_space:  global
        .offset:         24
        .size:           8
        .value_kind:     global_buffer
      - .offset:         32
        .size:           8
        .value_kind:     by_value
      - .actual_access:  read_only
        .address_space:  global
        .offset:         40
        .size:           8
        .value_kind:     global_buffer
      - .actual_access:  read_only
        .address_space:  global
        .offset:         48
        .size:           8
        .value_kind:     global_buffer
      - .offset:         56
        .size:           4
        .value_kind:     by_value
      - .actual_access:  read_only
        .address_space:  global
        .offset:         64
        .size:           8
        .value_kind:     global_buffer
      - .actual_access:  read_only
        .address_space:  global
        .offset:         72
        .size:           8
        .value_kind:     global_buffer
      - .address_space:  global
        .offset:         80
        .size:           8
        .value_kind:     global_buffer
    .group_segment_fixed_size: 0
    .kernarg_segment_align: 8
    .kernarg_segment_size: 88
    .language:       OpenCL C
    .language_version:
      - 2
      - 0
    .max_flat_workgroup_size: 96
    .name:           fft_rtc_fwd_len2880_factors_10_6_6_2_2_2_wgs_96_tpt_96_halfLds_sp_ip_CI_unitstride_sbrr_dirReg
    .private_segment_fixed_size: 0
    .sgpr_count:     26
    .sgpr_spill_count: 0
    .symbol:         fft_rtc_fwd_len2880_factors_10_6_6_2_2_2_wgs_96_tpt_96_halfLds_sp_ip_CI_unitstride_sbrr_dirReg.kd
    .uniform_work_group_size: 1
    .uses_dynamic_stack: false
    .vgpr_count:     129
    .vgpr_spill_count: 0
    .wavefront_size: 64
amdhsa.target:   amdgcn-amd-amdhsa--gfx906
amdhsa.version:
  - 1
  - 2
...

	.end_amdgpu_metadata
